;; amdgpu-corpus repo=ROCm/rocFFT kind=compiled arch=gfx950 opt=O3
	.text
	.amdgcn_target "amdgcn-amd-amdhsa--gfx950"
	.amdhsa_code_object_version 6
	.protected	bluestein_single_back_len1638_dim1_sp_op_CI_CI ; -- Begin function bluestein_single_back_len1638_dim1_sp_op_CI_CI
	.globl	bluestein_single_back_len1638_dim1_sp_op_CI_CI
	.p2align	8
	.type	bluestein_single_back_len1638_dim1_sp_op_CI_CI,@function
bluestein_single_back_len1638_dim1_sp_op_CI_CI: ; @bluestein_single_back_len1638_dim1_sp_op_CI_CI
; %bb.0:
	s_load_dwordx4 s[8:11], s[0:1], 0x28
	v_mul_u32_u24_e32 v1, 0x169, v0
	v_mov_b32_e32 v251, 0
	v_add_u32_sdwa v252, s2, v1 dst_sel:DWORD dst_unused:UNUSED_PAD src0_sel:DWORD src1_sel:WORD_1
	v_mov_b32_e32 v253, v251
	s_waitcnt lgkmcnt(0)
	v_cmp_gt_u64_e32 vcc, s[8:9], v[252:253]
	s_and_saveexec_b64 s[2:3], vcc
	s_cbranch_execz .LBB0_33
; %bb.1:
	s_load_dwordx2 s[16:17], s[0:1], 0x0
	s_load_dwordx2 s[18:19], s[0:1], 0x38
	s_movk_i32 s2, 0xb6
	v_mul_lo_u16_sdwa v1, v1, s2 dst_sel:DWORD dst_unused:UNUSED_PAD src0_sel:WORD_1 src1_sel:DWORD
	v_sub_u16_e32 v250, v0, v1
	s_movk_i32 s2, 0x7e
	v_cmp_gt_u16_e64 s[8:9], s2, v250
	v_lshlrev_b32_e32 v74, 3, v250
	s_and_saveexec_b64 s[2:3], s[8:9]
	s_cbranch_execz .LBB0_3
; %bb.2:
	s_load_dwordx2 s[4:5], s[0:1], 0x18
	v_mov_b32_e32 v0, s10
	v_mov_b32_e32 v1, s11
	;; [unrolled: 1-line block ×4, first 2 shown]
	s_waitcnt lgkmcnt(0)
	s_load_dwordx4 s[4:7], s[4:5], 0x0
	s_waitcnt lgkmcnt(0)
	v_mad_u64_u32 v[2:3], s[10:11], s6, v252, 0
	v_mad_u64_u32 v[4:5], s[10:11], s4, v250, 0
	v_mov_b32_e32 v6, v3
	v_mov_b32_e32 v8, v5
	v_mad_u64_u32 v[6:7], s[6:7], s7, v252, v[6:7]
	v_mov_b32_e32 v3, v6
	v_mad_u64_u32 v[6:7], s[6:7], s5, v250, v[8:9]
	v_mov_b32_e32 v5, v6
	v_lshl_add_u64 v[0:1], v[2:3], 3, v[0:1]
	v_lshl_add_u64 v[0:1], v[4:5], 3, v[0:1]
	global_load_dwordx2 v[2:3], v[0:1], off
	v_mad_u64_u32 v[0:1], s[6:7], s4, v52, v[0:1]
	s_mul_i32 s10, s5, 0x3f0
	v_add_u32_e32 v1, s10, v1
	v_mad_u64_u32 v[6:7], s[6:7], s4, v52, v[0:1]
	v_add_u32_e32 v7, s10, v7
	v_mad_u64_u32 v[8:9], s[6:7], s4, v52, v[6:7]
	;; [unrolled: 2-line block ×3, first 2 shown]
	v_add_u32_e32 v19, s10, v19
	global_load_dwordx2 v[10:11], v74, s[16:17]
	global_load_dwordx2 v[12:13], v74, s[16:17] offset:1008
	global_load_dwordx2 v[14:15], v74, s[16:17] offset:2016
	;; [unrolled: 1-line block ×3, first 2 shown]
	global_load_dwordx2 v[20:21], v[0:1], off
	global_load_dwordx2 v[22:23], v[6:7], off
	;; [unrolled: 1-line block ×4, first 2 shown]
	global_load_dwordx2 v[28:29], v74, s[16:17] offset:4032
	v_mad_u64_u32 v[0:1], s[6:7], s4, v52, v[18:19]
	v_add_u32_e32 v1, s10, v1
	v_lshl_add_u64 v[4:5], s[16:17], 0, v[74:75]
	global_load_dwordx2 v[6:7], v[0:1], off
	s_movk_i32 s5, 0x1000
	v_mad_u64_u32 v[0:1], s[6:7], s4, v52, v[0:1]
	v_add_co_u32_e32 v8, vcc, s5, v4
	v_add_u32_e32 v1, s10, v1
	s_nop 0
	v_addc_co_u32_e32 v9, vcc, 0, v5, vcc
	global_load_dwordx2 v[18:19], v[0:1], off
	global_load_dwordx2 v[30:31], v[8:9], off offset:944
	v_mad_u64_u32 v[0:1], s[6:7], s4, v52, v[0:1]
	v_add_u32_e32 v1, s10, v1
	global_load_dwordx2 v[32:33], v[0:1], off
	v_mad_u64_u32 v[0:1], s[6:7], s4, v52, v[0:1]
	v_add_u32_e32 v1, s10, v1
	global_load_dwordx2 v[34:35], v[8:9], off offset:1952
	global_load_dwordx2 v[36:37], v[0:1], off
	global_load_dwordx2 v[38:39], v[8:9], off offset:2960
	global_load_dwordx2 v[40:41], v[8:9], off offset:3968
	v_mad_u64_u32 v[0:1], s[6:7], s4, v52, v[0:1]
	v_add_u32_e32 v1, s10, v1
	s_movk_i32 s5, 0x2000
	global_load_dwordx2 v[8:9], v[0:1], off
	v_add_co_u32_e32 v4, vcc, s5, v4
	v_mad_u64_u32 v[0:1], s[6:7], s4, v52, v[0:1]
	s_nop 0
	v_addc_co_u32_e32 v5, vcc, 0, v5, vcc
	v_add_u32_e32 v1, s10, v1
	global_load_dwordx2 v[42:43], v[4:5], off offset:880
	global_load_dwordx2 v[44:45], v[0:1], off
	global_load_dwordx2 v[46:47], v[4:5], off offset:1888
	v_mad_u64_u32 v[0:1], s[6:7], s4, v52, v[0:1]
	v_add_u32_e32 v1, s10, v1
	global_load_dwordx2 v[48:49], v[0:1], off
	global_load_dwordx2 v[50:51], v[4:5], off offset:2896
	v_mad_u64_u32 v[0:1], s[4:5], s4, v52, v[0:1]
	v_add_u32_e32 v1, s10, v1
	global_load_dwordx2 v[52:53], v[4:5], off offset:3904
	global_load_dwordx2 v[54:55], v[0:1], off
	v_add_u32_e32 v4, 0x400, v74
	s_waitcnt vmcnt(24)
	v_mul_f32_e32 v1, v2, v11
	v_mul_f32_e32 v0, v3, v11
	v_fma_f32 v1, v3, v10, -v1
	v_fmac_f32_e32 v0, v2, v10
	s_waitcnt vmcnt(20)
	v_mul_f32_e32 v2, v21, v13
	v_mul_f32_e32 v3, v20, v13
	v_fmac_f32_e32 v2, v20, v12
	v_fma_f32 v3, v21, v12, -v3
	ds_write2_b64 v74, v[0:1], v[2:3] offset1:126
	s_waitcnt vmcnt(19)
	v_mul_f32_e32 v0, v23, v15
	v_mul_f32_e32 v1, v22, v15
	s_waitcnt vmcnt(18)
	v_mul_f32_e32 v2, v25, v17
	v_mul_f32_e32 v3, v24, v17
	v_fmac_f32_e32 v0, v22, v14
	v_fma_f32 v1, v23, v14, -v1
	v_fmac_f32_e32 v2, v24, v16
	v_fma_f32 v3, v25, v16, -v3
	ds_write2_b64 v4, v[0:1], v[2:3] offset0:124 offset1:250
	s_waitcnt vmcnt(16)
	v_mul_f32_e32 v0, v27, v29
	v_mul_f32_e32 v1, v26, v29
	s_waitcnt vmcnt(13)
	v_mul_f32_e32 v2, v7, v31
	v_mul_f32_e32 v3, v6, v31
	v_fmac_f32_e32 v0, v26, v28
	v_fma_f32 v1, v27, v28, -v1
	v_fmac_f32_e32 v2, v6, v30
	v_fma_f32 v3, v7, v30, -v3
	v_add_u32_e32 v4, 0xc00, v74
	ds_write2_b64 v4, v[0:1], v[2:3] offset0:120 offset1:246
	s_waitcnt vmcnt(11)
	v_mul_f32_e32 v0, v19, v35
	v_mul_f32_e32 v1, v18, v35
	s_waitcnt vmcnt(9)
	v_mul_f32_e32 v2, v33, v39
	v_mul_f32_e32 v3, v32, v39
	v_fmac_f32_e32 v0, v18, v34
	v_fma_f32 v1, v19, v34, -v1
	v_fmac_f32_e32 v2, v32, v38
	v_fma_f32 v3, v33, v38, -v3
	v_add_u32_e32 v4, 0x1400, v74
	;; [unrolled: 12-line block ×4, first 2 shown]
	ds_write2_b64 v4, v[0:1], v[2:3] offset0:108 offset1:234
	s_waitcnt vmcnt(0)
	v_mul_f32_e32 v0, v55, v53
	v_mul_f32_e32 v1, v54, v53
	v_fmac_f32_e32 v0, v54, v52
	v_fma_f32 v1, v55, v52, -v1
	ds_write_b64 v74, v[0:1] offset:12096
.LBB0_3:
	s_or_b64 exec, exec, s[2:3]
	v_mov_b64_e32 v[0:1], 0
	s_waitcnt lgkmcnt(0)
	s_barrier
	s_waitcnt lgkmcnt(0)
                                        ; implicit-def: $vgpr6
                                        ; implicit-def: $vgpr12
                                        ; implicit-def: $vgpr10
                                        ; implicit-def: $vgpr20
                                        ; implicit-def: $vgpr18
                                        ; implicit-def: $vgpr44
	s_and_saveexec_b64 s[2:3], s[8:9]
	s_cbranch_execz .LBB0_5
; %bb.4:
	v_add_u32_e32 v4, 0x400, v74
	ds_read2_b64 v[16:19], v4 offset0:124 offset1:250
	v_add_u32_e32 v4, 0xc00, v74
	ds_read2_b64 v[8:11], v4 offset0:120 offset1:246
	v_add_u32_e32 v4, 0x1400, v74
	v_add_u32_e32 v12, 0x1c00, v74
	;; [unrolled: 1-line block ×3, first 2 shown]
	ds_read2_b64 v[0:3], v74 offset1:126
	ds_read2_b64 v[4:7], v4 offset0:116 offset1:242
	ds_read2_b64 v[12:15], v12 offset0:112 offset1:238
	;; [unrolled: 1-line block ×3, first 2 shown]
	ds_read_b64 v[44:45], v74 offset:12096
.LBB0_5:
	s_or_b64 exec, exec, s[2:3]
	s_waitcnt lgkmcnt(0)
	v_pk_add_f32 v[42:43], v[2:3], v[44:45] neg_lo:[0,1] neg_hi:[0,1]
	s_mov_b32 s12, 0xbf29c268
	v_pk_add_f32 v[30:31], v[44:45], v[2:3]
	v_pk_add_f32 v[38:39], v[16:17], v[22:23] neg_lo:[0,1] neg_hi:[0,1]
	s_mov_b32 s4, 0xbf3f9e67
	v_pk_mul_f32 v[36:37], v[42:43], s[12:13] op_sel_hi:[1,0]
	s_mov_b32 s14, 0x3f7e222b
	v_pk_add_f32 v[28:29], v[22:23], v[16:17]
	v_pk_fma_f32 v[46:47], v[30:31], s[4:5], v[36:37] op_sel:[0,0,1] op_sel_hi:[1,0,0]
	v_pk_fma_f32 v[48:49], v[30:31], s[4:5], v[36:37] op_sel:[0,0,1] op_sel_hi:[1,0,0] neg_lo:[0,0,1] neg_hi:[0,0,1]
	s_mov_b32 s2, 0x3df6dbef
	v_pk_mul_f32 v[40:41], v[38:39], s[14:15] op_sel_hi:[1,0]
	v_mov_b32_e32 v36, v46
	v_mov_b32_e32 v37, v49
	v_pk_fma_f32 v[50:51], v[28:29], s[2:3], v[40:41] op_sel:[0,0,1] op_sel_hi:[1,0,0]
	v_pk_fma_f32 v[52:53], v[28:29], s[2:3], v[40:41] op_sel:[0,0,1] op_sel_hi:[1,0,0] neg_lo:[0,0,1] neg_hi:[0,0,1]
	v_pk_add_f32 v[34:35], v[18:19], v[20:21] neg_lo:[0,1] neg_hi:[0,1]
	v_pk_add_f32 v[36:37], v[36:37], v[0:1]
	v_mov_b32_e32 v40, v50
	v_mov_b32_e32 v41, v53
	s_mov_b32 s28, 0xbf52af12
	v_pk_add_f32 v[26:27], v[20:21], v[18:19]
	v_pk_add_f32 v[36:37], v[40:41], v[36:37]
	s_mov_b32 s6, 0x3f116cb1
	v_pk_mul_f32 v[40:41], v[34:35], s[28:29] op_sel_hi:[1,0]
	v_pk_add_f32 v[32:33], v[8:9], v[14:15] neg_lo:[0,1] neg_hi:[0,1]
	v_pk_fma_f32 v[58:59], v[26:27], s[6:7], v[40:41] op_sel:[0,0,1] op_sel_hi:[1,0,0]
	v_pk_fma_f32 v[60:61], v[26:27], s[6:7], v[40:41] op_sel:[0,0,1] op_sel_hi:[1,0,0] neg_lo:[0,0,1] neg_hi:[0,0,1]
	v_mov_b32_e32 v40, v58
	v_mov_b32_e32 v41, v61
	s_mov_b32 s10, 0x3e750f2a
	v_pk_add_f32 v[24:25], v[14:15], v[8:9]
	v_pk_add_f32 v[36:37], v[40:41], v[36:37]
	s_mov_b32 s20, 0xbf788fa5
	v_pk_mul_f32 v[40:41], v[32:33], s[10:11] op_sel_hi:[1,0]
	s_mov_b32 s24, 0xbeedf032
	v_pk_fma_f32 v[62:63], v[24:25], s[20:21], v[40:41] op_sel:[0,0,1] op_sel_hi:[1,0,0]
	v_pk_fma_f32 v[64:65], v[24:25], s[20:21], v[40:41] op_sel:[0,0,1] op_sel_hi:[1,0,0] neg_lo:[0,0,1] neg_hi:[0,0,1]
	v_mov_b32_e32 v40, v62
	v_mov_b32_e32 v41, v65
	v_pk_add_f32 v[36:37], v[40:41], v[36:37]
	s_mov_b32 s22, 0x3f62ad3f
	v_pk_mul_f32 v[40:41], v[42:43], s[24:25] op_sel_hi:[1,0]
	v_pk_mul_f32 v[54:55], v[38:39], s[28:29] op_sel_hi:[1,0]
	v_pk_fma_f32 v[80:81], v[30:31], s[22:23], v[40:41] op_sel:[0,0,1] op_sel_hi:[1,0,0]
	v_pk_fma_f32 v[72:73], v[30:31], s[22:23], v[40:41] op_sel:[0,0,1] op_sel_hi:[1,0,0] neg_lo:[0,0,1] neg_hi:[0,0,1]
	v_mov_b32_e32 v40, v80
	v_mov_b32_e32 v41, v73
	v_pk_fma_f32 v[84:85], v[28:29], s[6:7], v[54:55] op_sel:[0,0,1] op_sel_hi:[1,0,0]
	v_pk_fma_f32 v[82:83], v[28:29], s[6:7], v[54:55] op_sel:[0,0,1] op_sel_hi:[1,0,0] neg_lo:[0,0,1] neg_hi:[0,0,1]
	v_mov_b32_e32 v54, v84
	v_mov_b32_e32 v55, v83
	v_pk_add_f32 v[40:41], v[40:41], v[0:1]
	s_mov_b32 s36, 0xbf7e222b
	v_pk_add_f32 v[40:41], v[54:55], v[40:41]
	v_pk_mul_f32 v[54:55], v[34:35], s[36:37] op_sel_hi:[1,0]
	s_mov_b32 s26, 0xbf6f5d39
	v_pk_fma_f32 v[88:89], v[26:27], s[2:3], v[54:55] op_sel:[0,0,1] op_sel_hi:[1,0,0]
	v_pk_fma_f32 v[90:91], v[26:27], s[2:3], v[54:55] op_sel:[0,0,1] op_sel_hi:[1,0,0] neg_lo:[0,0,1] neg_hi:[0,0,1]
	v_mov_b32_e32 v54, v88
	v_mov_b32_e32 v55, v91
	v_pk_add_f32 v[40:41], v[54:55], v[40:41]
	s_mov_b32 s24, 0xbeb58ec6
	v_pk_mul_f32 v[54:55], v[32:33], s[26:27] op_sel_hi:[1,0]
	v_pk_add_f32 v[70:71], v[10:11], v[12:13] neg_lo:[0,1] neg_hi:[0,1]
	v_pk_fma_f32 v[98:99], v[24:25], s[24:25], v[54:55] op_sel:[0,0,1] op_sel_hi:[1,0,0]
	v_pk_fma_f32 v[100:101], v[24:25], s[24:25], v[54:55] op_sel:[0,0,1] op_sel_hi:[1,0,0] neg_lo:[0,0,1] neg_hi:[0,0,1]
	v_mov_b32_e32 v54, v98
	v_mov_b32_e32 v55, v101
	v_pk_add_f32 v[40:41], v[54:55], v[40:41]
	v_pk_add_f32 v[66:67], v[12:13], v[10:11]
	v_pk_mul_f32 v[54:55], v[70:71], s[12:13] op_sel_hi:[1,0]
	s_mov_b32 s30, 0xbe750f2a
	v_pk_fma_f32 v[102:103], v[66:67], s[4:5], v[54:55] op_sel:[0,0,1] op_sel_hi:[1,0,0]
	v_pk_fma_f32 v[104:105], v[66:67], s[4:5], v[54:55] op_sel:[0,0,1] op_sel_hi:[1,0,0] neg_lo:[0,0,1] neg_hi:[0,0,1]
	v_mov_b32_e32 v54, v102
	v_mov_b32_e32 v55, v105
	v_pk_add_f32 v[186:187], v[54:55], v[40:41]
	v_pk_mul_f32 v[40:41], v[42:43], s[28:29] op_sel_hi:[1,0]
	v_pk_mul_f32 v[54:55], v[38:39], s[26:27] op_sel_hi:[1,0]
	v_pk_fma_f32 v[92:93], v[30:31], s[6:7], v[40:41] op_sel:[0,0,1] op_sel_hi:[1,0,0]
	v_pk_fma_f32 v[86:87], v[30:31], s[6:7], v[40:41] op_sel:[0,0,1] op_sel_hi:[1,0,0] neg_lo:[0,0,1] neg_hi:[0,0,1]
	v_mov_b32_e32 v40, v92
	v_mov_b32_e32 v41, v87
	v_pk_fma_f32 v[96:97], v[28:29], s[24:25], v[54:55] op_sel:[0,0,1] op_sel_hi:[1,0,0]
	v_pk_fma_f32 v[94:95], v[28:29], s[24:25], v[54:55] op_sel:[0,0,1] op_sel_hi:[1,0,0] neg_lo:[0,0,1] neg_hi:[0,0,1]
	v_mov_b32_e32 v54, v96
	v_mov_b32_e32 v55, v95
	v_pk_add_f32 v[40:41], v[40:41], v[0:1]
	s_mov_b32 s38, 0x3f29c268
	v_pk_add_f32 v[40:41], v[54:55], v[40:41]
	v_pk_mul_f32 v[54:55], v[34:35], s[30:31] op_sel_hi:[1,0]
	v_pk_mul_f32 v[56:57], v[38:39], s[30:31] op_sel_hi:[1,0]
	v_pk_fma_f32 v[106:107], v[26:27], s[20:21], v[54:55] op_sel:[0,0,1] op_sel_hi:[1,0,0]
	v_pk_fma_f32 v[108:109], v[26:27], s[20:21], v[54:55] op_sel:[0,0,1] op_sel_hi:[1,0,0] neg_lo:[0,0,1] neg_hi:[0,0,1]
	v_mov_b32_e32 v54, v106
	v_mov_b32_e32 v55, v109
	v_pk_add_f32 v[40:41], v[54:55], v[40:41]
	v_pk_mul_f32 v[54:55], v[32:33], s[38:39] op_sel_hi:[1,0]
	v_pk_fma_f32 v[122:123], v[28:29], s[20:21], v[56:57] op_sel:[0,0,1] op_sel_hi:[1,0,0]
	v_pk_fma_f32 v[112:113], v[24:25], s[4:5], v[54:55] op_sel:[0,0,1] op_sel_hi:[1,0,0]
	v_pk_fma_f32 v[114:115], v[24:25], s[4:5], v[54:55] op_sel:[0,0,1] op_sel_hi:[1,0,0] neg_lo:[0,0,1] neg_hi:[0,0,1]
	v_mov_b32_e32 v54, v112
	v_mov_b32_e32 v55, v115
	v_pk_add_f32 v[40:41], v[54:55], v[40:41]
	v_pk_mul_f32 v[54:55], v[70:71], s[14:15] op_sel_hi:[1,0]
	v_pk_fma_f32 v[124:125], v[28:29], s[20:21], v[56:57] op_sel:[0,0,1] op_sel_hi:[1,0,0] neg_lo:[0,0,1] neg_hi:[0,0,1]
	v_pk_fma_f32 v[120:121], v[66:67], s[2:3], v[54:55] op_sel:[0,0,1] op_sel_hi:[1,0,0]
	v_pk_fma_f32 v[126:127], v[66:67], s[2:3], v[54:55] op_sel:[0,0,1] op_sel_hi:[1,0,0] neg_lo:[0,0,1] neg_hi:[0,0,1]
	v_mov_b32_e32 v54, v120
	v_mov_b32_e32 v55, v127
	v_pk_add_f32 v[40:41], v[54:55], v[40:41]
	v_pk_mul_f32 v[54:55], v[42:43], s[36:37] op_sel_hi:[1,0]
	v_mov_b32_e32 v56, v122
	v_pk_fma_f32 v[116:117], v[30:31], s[2:3], v[54:55] op_sel:[0,0,1] op_sel_hi:[1,0,0]
	v_pk_fma_f32 v[118:119], v[30:31], s[2:3], v[54:55] op_sel:[0,0,1] op_sel_hi:[1,0,0] neg_lo:[0,0,1] neg_hi:[0,0,1]
	v_mov_b32_e32 v54, v116
	v_mov_b32_e32 v55, v119
	;; [unrolled: 1-line block ×3, first 2 shown]
	v_pk_add_f32 v[54:55], v[54:55], v[0:1]
	s_mov_b32 s34, 0x3f6f5d39
	v_pk_add_f32 v[54:55], v[56:57], v[54:55]
	v_pk_mul_f32 v[56:57], v[34:35], s[34:35] op_sel_hi:[1,0]
	s_mov_b32 s34, 0x3eedf032
	v_pk_fma_f32 v[130:131], v[26:27], s[24:25], v[56:57] op_sel:[0,0,1] op_sel_hi:[1,0,0]
	v_pk_fma_f32 v[136:137], v[26:27], s[24:25], v[56:57] op_sel:[0,0,1] op_sel_hi:[1,0,0] neg_lo:[0,0,1] neg_hi:[0,0,1]
	v_mov_b32_e32 v56, v130
	v_mov_b32_e32 v57, v137
	v_pk_add_f32 v[54:55], v[56:57], v[54:55]
	v_pk_mul_f32 v[56:57], v[32:33], s[34:35] op_sel_hi:[1,0]
	v_pk_mul_f32 v[68:69], v[38:39], s[38:39] op_sel_hi:[1,0]
	v_pk_fma_f32 v[142:143], v[24:25], s[22:23], v[56:57] op_sel:[0,0,1] op_sel_hi:[1,0,0]
	v_pk_fma_f32 v[144:145], v[24:25], s[22:23], v[56:57] op_sel:[0,0,1] op_sel_hi:[1,0,0] neg_lo:[0,0,1] neg_hi:[0,0,1]
	v_mov_b32_e32 v56, v142
	v_mov_b32_e32 v57, v145
	v_pk_add_f32 v[54:55], v[56:57], v[54:55]
	v_pk_mul_f32 v[56:57], v[70:71], s[28:29] op_sel_hi:[1,0]
	v_pk_fma_f32 v[138:139], v[28:29], s[4:5], v[68:69] op_sel:[0,0,1] op_sel_hi:[1,0,0]
	v_pk_fma_f32 v[146:147], v[66:67], s[6:7], v[56:57] op_sel:[0,0,1] op_sel_hi:[1,0,0]
	v_pk_fma_f32 v[148:149], v[66:67], s[6:7], v[56:57] op_sel:[0,0,1] op_sel_hi:[1,0,0] neg_lo:[0,0,1] neg_hi:[0,0,1]
	v_mov_b32_e32 v56, v146
	v_mov_b32_e32 v57, v149
	v_pk_add_f32 v[54:55], v[56:57], v[54:55]
	v_pk_mul_f32 v[56:57], v[42:43], s[26:27] op_sel_hi:[1,0]
	v_pk_fma_f32 v[140:141], v[28:29], s[4:5], v[68:69] op_sel:[0,0,1] op_sel_hi:[1,0,0] neg_lo:[0,0,1] neg_hi:[0,0,1]
	v_pk_fma_f32 v[132:133], v[30:31], s[24:25], v[56:57] op_sel:[0,0,1] op_sel_hi:[1,0,0]
	v_pk_fma_f32 v[134:135], v[30:31], s[24:25], v[56:57] op_sel:[0,0,1] op_sel_hi:[1,0,0] neg_lo:[0,0,1] neg_hi:[0,0,1]
	v_mov_b32_e32 v56, v132
	v_mov_b32_e32 v57, v135
	;; [unrolled: 1-line block ×4, first 2 shown]
	v_pk_add_f32 v[56:57], v[56:57], v[0:1]
	v_pk_add_f32 v[128:129], v[4:5], v[6:7] neg_lo:[0,1] neg_hi:[0,1]
	v_pk_add_f32 v[56:57], v[68:69], v[56:57]
	v_pk_mul_f32 v[68:69], v[34:35], s[34:35] op_sel_hi:[1,0]
	v_pk_add_f32 v[110:111], v[6:7], v[4:5]
	v_pk_fma_f32 v[154:155], v[26:27], s[22:23], v[68:69] op_sel:[0,0,1] op_sel_hi:[1,0,0]
	v_pk_fma_f32 v[156:157], v[26:27], s[22:23], v[68:69] op_sel:[0,0,1] op_sel_hi:[1,0,0] neg_lo:[0,0,1] neg_hi:[0,0,1]
	v_mov_b32_e32 v68, v154
	v_mov_b32_e32 v69, v157
	v_pk_add_f32 v[56:57], v[68:69], v[56:57]
	v_pk_mul_f32 v[68:69], v[32:33], s[36:37] op_sel_hi:[1,0]
	s_mov_b32 s36, 0x3f52af12
	v_pk_fma_f32 v[158:159], v[24:25], s[2:3], v[68:69] op_sel:[0,0,1] op_sel_hi:[1,0,0]
	v_pk_fma_f32 v[160:161], v[24:25], s[2:3], v[68:69] op_sel:[0,0,1] op_sel_hi:[1,0,0] neg_lo:[0,0,1] neg_hi:[0,0,1]
	v_mov_b32_e32 v68, v158
	v_mov_b32_e32 v69, v161
	v_pk_add_f32 v[56:57], v[68:69], v[56:57]
	v_pk_mul_f32 v[68:69], v[70:71], s[10:11] op_sel_hi:[1,0]
	s_load_dwordx2 s[28:29], s[0:1], 0x20
	s_load_dwordx2 s[10:11], s[0:1], 0x8
	v_pk_fma_f32 v[162:163], v[66:67], s[20:21], v[68:69] op_sel:[0,0,1] op_sel_hi:[1,0,0]
	v_pk_fma_f32 v[164:165], v[66:67], s[20:21], v[68:69] op_sel:[0,0,1] op_sel_hi:[1,0,0] neg_lo:[0,0,1] neg_hi:[0,0,1]
	v_mov_b32_e32 v68, v162
	v_mov_b32_e32 v69, v165
	v_pk_add_f32 v[56:57], v[68:69], v[56:57]
	v_pk_mul_f32 v[68:69], v[70:71], s[34:35] op_sel_hi:[1,0]
	v_mul_lo_u16_e32 v79, 13, v250
	v_pk_fma_f32 v[150:151], v[66:67], s[22:23], v[68:69] op_sel:[0,0,1] op_sel_hi:[1,0,0]
	v_pk_fma_f32 v[152:153], v[66:67], s[22:23], v[68:69] op_sel:[0,0,1] op_sel_hi:[1,0,0] neg_lo:[0,0,1] neg_hi:[0,0,1]
	v_mov_b32_e32 v68, v150
	v_mov_b32_e32 v69, v153
	v_pk_add_f32 v[36:37], v[68:69], v[36:37]
	v_pk_mul_f32 v[68:69], v[128:129], s[34:35] op_sel_hi:[1,0]
	s_waitcnt lgkmcnt(0)
	v_pk_fma_f32 v[178:179], v[110:111], s[22:23], v[68:69] op_sel:[0,0,1] op_sel_hi:[1,0,0]
	v_pk_fma_f32 v[180:181], v[110:111], s[22:23], v[68:69] op_sel:[0,0,1] op_sel_hi:[1,0,0] neg_lo:[0,0,1] neg_hi:[0,0,1]
	v_mov_b32_e32 v68, v178
	v_mov_b32_e32 v69, v181
	v_pk_add_f32 v[40:41], v[68:69], v[40:41]
	v_pk_mul_f32 v[68:69], v[128:129], s[12:13] op_sel_hi:[1,0]
	s_barrier
	v_pk_fma_f32 v[174:175], v[110:111], s[4:5], v[68:69] op_sel:[0,0,1] op_sel_hi:[1,0,0]
	v_pk_fma_f32 v[176:177], v[110:111], s[4:5], v[68:69] op_sel:[0,0,1] op_sel_hi:[1,0,0] neg_lo:[0,0,1] neg_hi:[0,0,1]
	v_mov_b32_e32 v68, v174
	v_mov_b32_e32 v69, v177
	v_pk_add_f32 v[54:55], v[68:69], v[54:55]
	v_pk_mul_f32 v[68:69], v[128:129], s[36:37] op_sel_hi:[1,0]
	s_nop 0
	v_pk_fma_f32 v[170:171], v[110:111], s[6:7], v[68:69] op_sel:[0,0,1] op_sel_hi:[1,0,0]
	v_pk_fma_f32 v[172:173], v[110:111], s[6:7], v[68:69] op_sel:[0,0,1] op_sel_hi:[1,0,0] neg_lo:[0,0,1] neg_hi:[0,0,1]
	v_mov_b32_e32 v68, v170
	v_mov_b32_e32 v69, v173
	v_pk_add_f32 v[68:69], v[68:69], v[56:57]
	v_pk_mul_f32 v[56:57], v[128:129], s[26:27] op_sel_hi:[1,0]
	s_nop 0
	;; [unrolled: 7-line block ×3, first 2 shown]
	v_pk_fma_f32 v[182:183], v[110:111], s[20:21], v[36:37] op_sel:[0,0,1] op_sel_hi:[1,0,0]
	v_pk_fma_f32 v[184:185], v[110:111], s[20:21], v[36:37] op_sel:[0,0,1] op_sel_hi:[1,0,0] neg_lo:[0,0,1] neg_hi:[0,0,1]
	v_mov_b32_e32 v36, v182
	v_mov_b32_e32 v37, v185
	v_pk_add_f32 v[36:37], v[36:37], v[186:187]
	s_and_saveexec_b64 s[0:1], s[8:9]
	s_cbranch_execz .LBB0_7
; %bb.6:
	v_pk_add_f32 v[2:3], v[2:3], v[0:1]
	v_mov_b32_e32 v73, v81
	v_pk_add_f32 v[2:3], v[16:17], v[2:3]
	v_mov_b32_e32 v83, v85
	;; [unrolled: 2-line block ×5, first 2 shown]
	v_pk_add_f32 v[2:3], v[4:5], v[2:3]
	v_pk_add_f32 v[4:5], v[72:73], v[0:1]
	;; [unrolled: 1-line block ×11, first 2 shown]
	v_mov_b32_e32 v185, v183
	v_pk_add_f32 v[2:3], v[44:45], v[2:3]
	v_pk_add_f32 v[4:5], v[184:185], v[4:5]
	v_lshlrev_b32_e32 v44, 3, v79
	v_mov_b32_e32 v87, v93
	v_mov_b32_e32 v119, v117
	ds_write2_b64 v44, v[2:3], v[4:5] offset1:1
	v_mov_b32_e32 v95, v97
	v_pk_add_f32 v[2:3], v[86:87], v[0:1]
	v_pk_add_f32 v[4:5], v[118:119], v[0:1]
	v_mov_b32_e32 v125, v123
	v_pk_add_f32 v[2:3], v[94:95], v[2:3]
	v_mov_b32_e32 v109, v107
	;; [unrolled: 2-line block ×9, first 2 shown]
	v_pk_add_f32 v[2:3], v[180:181], v[2:3]
	v_pk_add_f32 v[4:5], v[176:177], v[4:5]
	v_mov_b32_e32 v135, v133
	v_mov_b32_e32 v49, v47
	ds_write2_b64 v44, v[2:3], v[4:5] offset0:2 offset1:3
	v_pk_add_f32 v[2:3], v[134:135], v[0:1]
	v_mov_b32_e32 v141, v139
	v_pk_add_f32 v[4:5], v[48:49], v[0:1]
	v_mov_b32_e32 v53, v51
	;; [unrolled: 2-line block ×10, first 2 shown]
	v_pk_add_f32 v[2:3], v[172:173], v[2:3]
	v_pk_add_f32 v[4:5], v[168:169], v[4:5]
	ds_write2_b64 v44, v[2:3], v[4:5] offset0:4 offset1:5
	v_pk_mul_f32 v[2:3], v[42:43], s[30:31] op_sel_hi:[1,0]
	v_pk_mul_f32 v[4:5], v[38:39], s[34:35] op_sel_hi:[1,0]
	v_pk_fma_f32 v[14:15], v[30:31], s[20:21], v[2:3] op_sel:[0,0,1] op_sel_hi:[1,0,0] neg_lo:[0,0,1] neg_hi:[0,0,1]
	v_pk_fma_f32 v[2:3], v[30:31], s[20:21], v[2:3] op_sel:[0,0,1] op_sel_hi:[1,0,0]
	v_mov_b32_e32 v16, v14
	v_mov_b32_e32 v17, v3
	v_pk_fma_f32 v[18:19], v[28:29], s[22:23], v[4:5] op_sel:[0,0,1] op_sel_hi:[1,0,0] neg_lo:[0,0,1] neg_hi:[0,0,1]
	v_pk_fma_f32 v[4:5], v[28:29], s[22:23], v[4:5] op_sel:[0,0,1] op_sel_hi:[1,0,0]
	v_pk_mul_f32 v[6:7], v[34:35], s[12:13] op_sel_hi:[1,0]
	v_pk_add_f32 v[16:17], v[16:17], v[0:1]
	v_mov_b32_e32 v20, v18
	v_mov_b32_e32 v21, v5
	v_pk_add_f32 v[16:17], v[20:21], v[16:17]
	v_pk_fma_f32 v[20:21], v[26:27], s[4:5], v[6:7] op_sel:[0,0,1] op_sel_hi:[1,0,0] neg_lo:[0,0,1] neg_hi:[0,0,1]
	v_pk_fma_f32 v[6:7], v[26:27], s[4:5], v[6:7] op_sel:[0,0,1] op_sel_hi:[1,0,0]
	v_pk_mul_f32 v[8:9], v[32:33], s[36:37] op_sel_hi:[1,0]
	v_mov_b32_e32 v22, v20
	v_mov_b32_e32 v23, v7
	v_pk_add_f32 v[16:17], v[22:23], v[16:17]
	v_pk_fma_f32 v[22:23], v[24:25], s[6:7], v[8:9] op_sel:[0,0,1] op_sel_hi:[1,0,0] neg_lo:[0,0,1] neg_hi:[0,0,1]
	v_pk_fma_f32 v[8:9], v[24:25], s[6:7], v[8:9] op_sel:[0,0,1] op_sel_hi:[1,0,0]
	v_mov_b32_e32 v3, v15
	v_pk_mul_f32 v[10:11], v[70:71], s[26:27] op_sel_hi:[1,0]
	v_mov_b32_e32 v24, v22
	v_mov_b32_e32 v25, v9
	v_pk_add_f32 v[0:1], v[2:3], v[0:1]
	v_mov_b32_e32 v5, v19
	v_pk_add_f32 v[16:17], v[24:25], v[16:17]
	v_pk_fma_f32 v[24:25], v[66:67], s[24:25], v[10:11] op_sel:[0,0,1] op_sel_hi:[1,0,0] neg_lo:[0,0,1] neg_hi:[0,0,1]
	v_pk_fma_f32 v[10:11], v[66:67], s[24:25], v[10:11] op_sel:[0,0,1] op_sel_hi:[1,0,0]
	v_pk_add_f32 v[0:1], v[4:5], v[0:1]
	v_mov_b32_e32 v7, v21
	v_pk_mul_f32 v[12:13], v[128:129], s[14:15] op_sel_hi:[1,0]
	v_mov_b32_e32 v26, v24
	v_mov_b32_e32 v27, v11
	v_pk_add_f32 v[0:1], v[6:7], v[0:1]
	v_mov_b32_e32 v9, v23
	v_pk_add_f32 v[16:17], v[26:27], v[16:17]
	v_pk_fma_f32 v[26:27], v[110:111], s[2:3], v[12:13] op_sel:[0,0,1] op_sel_hi:[1,0,0] neg_lo:[0,0,1] neg_hi:[0,0,1]
	v_pk_fma_f32 v[12:13], v[110:111], s[2:3], v[12:13] op_sel:[0,0,1] op_sel_hi:[1,0,0]
	v_pk_add_f32 v[0:1], v[8:9], v[0:1]
	v_mov_b32_e32 v11, v25
	v_mov_b32_e32 v28, v26
	;; [unrolled: 1-line block ×3, first 2 shown]
	v_pk_add_f32 v[0:1], v[10:11], v[0:1]
	v_mov_b32_e32 v13, v27
	v_pk_add_f32 v[16:17], v[28:29], v[16:17]
	v_pk_add_f32 v[0:1], v[12:13], v[0:1]
	ds_write2_b64 v44, v[16:17], v[0:1] offset0:6 offset1:7
	ds_write2_b64 v44, v[56:57], v[68:69] offset0:8 offset1:9
	;; [unrolled: 1-line block ×3, first 2 shown]
	ds_write_b64 v44, v[36:37] offset:96
.LBB0_7:
	s_or_b64 exec, exec, s[0:1]
	v_add_u32_e32 v4, 0x1800, v74
	s_waitcnt lgkmcnt(0)
	s_barrier
	ds_read2_b64 v[8:11], v4 offset0:51 offset1:233
	v_add_u32_e32 v4, 0xa00, v74
	v_add_u32_e32 v12, 0x2400, v74
	ds_read2_b64 v[0:3], v74 offset1:182
	ds_read2_b64 v[4:7], v4 offset0:44 offset1:226
	ds_read2_b64 v[12:15], v12 offset0:31 offset1:213
	s_movk_i32 s0, 0x5b
	v_cmp_gt_u16_e64 s[4:5], s0, v250
	s_and_saveexec_b64 s[0:1], s[4:5]
	s_cbranch_execz .LBB0_9
; %bb.8:
	ds_read_b64 v[56:57], v74 offset:5824
	ds_read_b64 v[68:69], v74 offset:12376
.LBB0_9:
	s_or_b64 exec, exec, s[0:1]
	s_mov_b64 s[0:1], 0xb6
	v_lshl_add_u64 v[62:63], v[250:251], 0, s[0:1]
	s_mov_b64 s[0:1], 0x16c
	v_lshl_add_u64 v[60:61], v[250:251], 0, s[0:1]
	s_mov_b64 s[0:1], 0x222
	s_movk_i32 s2, 0x4f
	v_lshl_add_u64 v[18:19], v[250:251], 0, s[0:1]
	v_mul_lo_u16_sdwa v16, v250, s2 dst_sel:DWORD dst_unused:UNUSED_PAD src0_sel:BYTE_0 src1_sel:DWORD
	v_lshrrev_b16_e32 v19, 10, v16
	s_movk_i32 s0, 0x4ec5
	v_add_u16_e32 v30, 0x2d8, v250
	v_mul_lo_u16_e32 v16, 13, v19
	v_mul_u32_u24_sdwa v17, v62, s0 dst_sel:DWORD dst_unused:UNUSED_PAD src0_sel:WORD_0 src1_sel:DWORD
	v_mul_u32_u24_e32 v31, 0x4ec5, v30
	v_sub_u16_e32 v16, v250, v16
	v_lshrrev_b32_e32 v22, 18, v17
	v_lshrrev_b32_e32 v86, 18, v31
	v_and_b32_e32 v20, 0xff, v16
	v_mul_lo_u16_e32 v16, 13, v22
	v_mul_lo_u16_e32 v31, 13, v86
	v_sub_u16_e32 v23, v62, v16
	v_mul_u32_u24_sdwa v16, v60, s0 dst_sel:DWORD dst_unused:UNUSED_PAD src0_sel:WORD_0 src1_sel:DWORD
	v_mul_u32_u24_sdwa v28, v18, s0 dst_sel:DWORD dst_unused:UNUSED_PAD src0_sel:WORD_0 src1_sel:DWORD
	v_sub_u16_e32 v87, v30, v31
	v_lshrrev_b32_e32 v25, 18, v16
	v_lshrrev_b32_e32 v28, 18, v28
	v_lshlrev_b32_e32 v30, 3, v87
	v_mul_lo_u16_e32 v26, 13, v25
	v_mul_lo_u16_e32 v29, 13, v28
	global_load_dwordx2 v[254:255], v30, s[10:11]
	v_lshlrev_b32_e32 v21, 3, v20
	v_sub_u16_e32 v26, v60, v26
	v_sub_u16_e32 v18, v18, v29
	v_lshlrev_b32_e32 v24, 3, v23
	v_lshlrev_b32_e32 v27, 3, v26
	;; [unrolled: 1-line block ×3, first 2 shown]
	global_load_dwordx2 v[88:89], v21, s[10:11]
	global_load_dwordx2 v[84:85], v24, s[10:11]
	;; [unrolled: 1-line block ×4, first 2 shown]
	v_mul_u32_u24_e32 v19, 26, v19
	v_add_lshl_u32 v251, v19, v20, 3
	v_mad_legacy_u16 v19, v22, 26, v23
	v_mad_legacy_u16 v18, v28, 26, v18
	;; [unrolled: 1-line block ×3, first 2 shown]
	v_lshlrev_b32_e32 v31, 3, v19
	v_lshlrev_b32_e32 v253, 3, v18
	s_load_dwordx4 s[12:15], s[28:29], 0x0
	v_lshlrev_b32_e32 v30, 3, v20
	v_accvgpr_write_b32 a3, v31
	v_accvgpr_write_b32 a1, v30
	s_waitcnt lgkmcnt(0)
	s_barrier
	s_waitcnt vmcnt(4)
	v_pk_mul_f32 v[18:19], v[68:69], v[254:255] op_sel:[1,0]
	s_nop 0
	v_pk_fma_f32 v[20:21], v[68:69], v[254:255], v[18:19] op_sel:[0,0,1] op_sel_hi:[1,1,0] neg_lo:[0,0,1] neg_hi:[0,0,1]
	v_pk_fma_f32 v[18:19], v[68:69], v[254:255], v[18:19] op_sel:[0,0,1] op_sel_hi:[0,1,0]
	v_mov_b32_e32 v21, v19
	s_waitcnt vmcnt(3)
	v_pk_mul_f32 v[22:23], v[8:9], v[88:89] op_sel:[0,1]
	s_waitcnt vmcnt(2)
	v_pk_mul_f32 v[24:25], v[10:11], v[84:85] op_sel:[0,1]
	;; [unrolled: 2-line block ×4, first 2 shown]
	v_pk_fma_f32 v[18:19], v[8:9], v[88:89], v[22:23] op_sel:[0,0,1] op_sel_hi:[1,1,0] neg_lo:[0,0,1] neg_hi:[0,0,1]
	v_pk_fma_f32 v[8:9], v[8:9], v[88:89], v[22:23] op_sel:[0,0,1] op_sel_hi:[1,0,0]
	v_pk_fma_f32 v[22:23], v[10:11], v[84:85], v[24:25] op_sel:[0,0,1] op_sel_hi:[1,1,0] neg_lo:[0,0,1] neg_hi:[0,0,1]
	v_pk_fma_f32 v[10:11], v[10:11], v[84:85], v[24:25] op_sel:[0,0,1] op_sel_hi:[1,0,0]
	;; [unrolled: 2-line block ×4, first 2 shown]
	v_mov_b32_e32 v19, v9
	v_mov_b32_e32 v23, v11
	;; [unrolled: 1-line block ×4, first 2 shown]
	v_pk_add_f32 v[8:9], v[0:1], v[18:19] neg_lo:[0,1] neg_hi:[0,1]
	v_pk_add_f32 v[10:11], v[2:3], v[22:23] neg_lo:[0,1] neg_hi:[0,1]
	;; [unrolled: 1-line block ×5, first 2 shown]
	v_pk_fma_f32 v[0:1], v[0:1], 2.0, v[8:9] op_sel_hi:[1,0,1] neg_lo:[0,0,1] neg_hi:[0,0,1]
	v_pk_fma_f32 v[2:3], v[2:3], 2.0, v[10:11] op_sel_hi:[1,0,1] neg_lo:[0,0,1] neg_hi:[0,0,1]
	;; [unrolled: 1-line block ×4, first 2 shown]
	ds_write2_b64 v251, v[0:1], v[8:9] offset1:13
	ds_write2_b64 v31, v[2:3], v[10:11] offset1:13
	ds_write2_b64 v30, v[4:5], v[12:13] offset1:13
	ds_write2_b64 v253, v[6:7], v[14:15] offset1:13
	s_and_saveexec_b64 s[0:1], s[4:5]
	s_cbranch_execz .LBB0_11
; %bb.10:
	v_mad_legacy_u16 v0, v86, 26, v87
	v_lshlrev_b32_e32 v2, 3, v0
	v_pk_fma_f32 v[0:1], v[56:57], 2.0, v[38:39] op_sel_hi:[1,0,1] neg_lo:[0,0,1] neg_hi:[0,0,1]
	ds_write2_b64 v2, v[0:1], v[38:39] offset1:13
.LBB0_11:
	s_or_b64 exec, exec, s[0:1]
	v_mul_lo_u16_sdwa v0, v250, s2 dst_sel:DWORD dst_unused:UNUSED_PAD src0_sel:BYTE_0 src1_sel:DWORD
	v_lshrrev_b16_e32 v32, 11, v0
	v_mul_lo_u16_e32 v0, 26, v32
	v_lshrrev_b32_e32 v33, 19, v17
	v_sub_u16_e32 v6, v250, v0
	v_mul_lo_u16_e32 v0, 26, v33
	v_sub_u16_e32 v34, v62, v0
	v_lshlrev_b16_e32 v0, 4, v34
	v_mov_b32_e32 v1, 0
	v_lshrrev_b32_e32 v35, 19, v16
	v_lshl_add_u64 v[2:3], s[10:11], 0, v[0:1]
	v_mul_lo_u16_e32 v0, 26, v35
	v_sub_u16_e32 v42, v60, v0
	v_lshlrev_b16_e32 v0, 4, v42
	v_lshl_add_u64 v[4:5], s[10:11], 0, v[0:1]
	v_and_b32_e32 v0, 0xff, v6
	s_waitcnt lgkmcnt(0)
	s_barrier
	global_load_dwordx4 v[20:23], v[4:5], off offset:104
	global_load_dwordx4 v[16:19], v[2:3], off offset:104
	v_lshlrev_b32_e32 v2, 4, v0
	global_load_dwordx4 v[12:15], v2, s[10:11] offset:104
	v_add_u32_e32 v6, 0xa00, v74
	v_add_u32_e32 v24, 0x1600, v74
	;; [unrolled: 1-line block ×3, first 2 shown]
	ds_read_b64 v[10:11], v74 offset:11648
	ds_read2_b64 v[2:5], v74 offset1:182
	ds_read2_b64 v[6:9], v6 offset0:44 offset1:226
	ds_read2_b64 v[24:27], v24 offset0:24 offset1:206
	;; [unrolled: 1-line block ×3, first 2 shown]
	s_movk_i32 s1, 0x4e
	v_mul_u32_u24_e32 v32, 0x4e, v32
	v_mad_legacy_u16 v33, v33, s1, v34
	v_mad_legacy_u16 v34, v35, s1, v42
	v_lshlrev_b32_e32 v56, 3, v33
	v_lshlrev_b32_e32 v47, 3, v34
	v_add_lshl_u32 v57, v32, v0, 3
	s_mov_b32 s0, 0x3f5db3d7
	s_waitcnt lgkmcnt(0)
	s_barrier
	v_accvgpr_write_b32 a12, v47
	v_accvgpr_write_b32 a14, v57
	;; [unrolled: 1-line block ×3, first 2 shown]
	v_cmp_lt_u16_e64 s[6:7], 51, v250
	v_cmp_gt_u16_e64 s[2:3], 52, v250
                                        ; implicit-def: $vgpr68
	s_waitcnt vmcnt(2)
	v_pk_mul_f32 v[32:33], v[26:27], v[20:21] op_sel:[0,1]
	v_mov_b32_e32 v0, v23
	s_waitcnt vmcnt(1)
	v_pk_mul_f32 v[34:35], v[24:25], v[16:17] op_sel:[0,1]
	v_mov_b32_e32 v42, v19
	;; [unrolled: 3-line block ×3, first 2 shown]
	v_pk_fma_f32 v[48:49], v[26:27], v[20:21], v[32:33] op_sel:[0,0,1] op_sel_hi:[1,1,0] neg_lo:[0,0,1] neg_hi:[0,0,1]
	v_pk_fma_f32 v[26:27], v[26:27], v[20:21], v[32:33] op_sel:[0,0,1] op_sel_hi:[1,0,0]
	v_pk_mul_f32 v[32:33], v[10:11], v[0:1] op_sel_hi:[1,0]
	v_pk_fma_f32 v[52:53], v[24:25], v[16:17], v[34:35] op_sel:[0,0,1] op_sel_hi:[1,1,0] neg_lo:[0,0,1] neg_hi:[0,0,1]
	v_pk_fma_f32 v[24:25], v[24:25], v[16:17], v[34:35] op_sel:[0,0,1] op_sel_hi:[1,0,0]
	v_pk_mul_f32 v[34:35], v[30:31], v[42:43] op_sel_hi:[1,0]
	;; [unrolled: 3-line block ×3, first 2 shown]
	v_mov_b32_e32 v49, v27
	v_pk_fma_f32 v[26:27], v[10:11], v[22:23], v[32:33] op_sel:[0,0,1] op_sel_hi:[1,1,0] neg_lo:[0,0,1] neg_hi:[0,0,1]
	v_pk_fma_f32 v[10:11], v[10:11], v[22:23], v[32:33] op_sel:[0,0,1] op_sel_hi:[1,0,0]
	v_mov_b32_e32 v43, v9
	v_pk_fma_f32 v[8:9], v[28:29], v[14:15], v[44:45] op_sel:[0,0,1] op_sel_hi:[1,1,0] neg_lo:[0,0,1] neg_hi:[0,0,1]
	v_pk_fma_f32 v[28:29], v[28:29], v[14:15], v[44:45] op_sel:[0,0,1] op_sel_hi:[1,0,0]
	;; [unrolled: 3-line block ×3, first 2 shown]
	v_mov_b32_e32 v27, v11
	v_mov_b32_e32 v9, v29
	v_pk_add_f32 v[28:29], v[2:3], v[42:43]
	v_mov_b32_e32 v25, v31
	v_pk_add_f32 v[30:31], v[48:49], v[26:27]
	v_pk_add_f32 v[32:33], v[48:49], v[26:27] neg_lo:[0,1] neg_hi:[0,1]
	v_pk_add_f32 v[28:29], v[28:29], v[8:9]
	v_pk_add_f32 v[44:45], v[42:43], v[8:9]
	v_pk_add_f32 v[8:9], v[42:43], v[8:9] neg_lo:[0,1] neg_hi:[0,1]
	v_pk_add_f32 v[10:11], v[6:7], v[48:49]
	v_pk_fma_f32 v[6:7], v[30:31], 0.5, v[6:7] op_sel_hi:[1,0,1] neg_lo:[1,0,0] neg_hi:[1,0,0]
	v_pk_mul_f32 v[30:31], v[32:33], s[0:1] op_sel_hi:[1,0]
	v_pk_fma_f32 v[2:3], v[44:45], 0.5, v[2:3] op_sel_hi:[1,0,1] neg_lo:[1,0,0] neg_hi:[1,0,0]
	v_pk_mul_f32 v[8:9], v[8:9], s[0:1] op_sel_hi:[1,0]
	v_pk_add_f32 v[10:11], v[10:11], v[26:27]
	v_pk_add_f32 v[26:27], v[52:53], v[24:25]
	v_pk_add_f32 v[34:35], v[52:53], v[24:25] neg_lo:[0,1] neg_hi:[0,1]
	v_pk_add_f32 v[50:51], v[6:7], v[30:31] op_sel:[0,1] op_sel_hi:[1,0]
	v_pk_add_f32 v[66:67], v[6:7], v[30:31] op_sel:[0,1] op_sel_hi:[1,0] neg_lo:[0,1] neg_hi:[0,1]
	v_pk_add_f32 v[30:31], v[2:3], v[8:9] op_sel:[0,1] op_sel_hi:[1,0]
	v_pk_add_f32 v[2:3], v[2:3], v[8:9] op_sel:[0,1] op_sel_hi:[1,0] neg_lo:[0,1] neg_hi:[0,1]
	v_pk_fma_f32 v[26:27], v[26:27], 0.5, v[4:5] op_sel_hi:[1,0,1] neg_lo:[1,0,0] neg_hi:[1,0,0]
	v_pk_mul_f32 v[32:33], v[34:35], s[0:1] op_sel_hi:[1,0]
	v_mov_b32_e32 v9, v3
	v_mov_b32_e32 v3, v31
	v_pk_add_f32 v[6:7], v[26:27], v[32:33] op_sel:[0,1] op_sel_hi:[1,0] neg_lo:[0,1] neg_hi:[0,1]
	v_pk_add_f32 v[26:27], v[26:27], v[32:33] op_sel:[0,1] op_sel_hi:[1,0]
	ds_write_b64 v57, v[2:3] offset:416
	v_pk_add_f32 v[2:3], v[4:5], v[52:53]
	v_mov_b32_e32 v8, v30
	v_pk_add_f32 v[2:3], v[2:3], v[24:25]
	v_mov_b32_e32 v4, v26
	v_mov_b32_e32 v5, v7
	ds_write2_b64 v57, v[28:29], v[8:9] offset1:26
	ds_write2_b64 v56, v[2:3], v[4:5] offset1:26
	v_mov_b32_e32 v7, v27
	v_mov_b32_e32 v2, v50
	;; [unrolled: 1-line block ×3, first 2 shown]
	ds_write_b64 v56, v[6:7] offset:416
	ds_write2_b64 v47, v[10:11], v[2:3] offset1:26
	v_mov_b32_e32 v2, v66
	v_mov_b32_e32 v3, v51
	v_add_u32_e32 v0, 0xe00, v74
	ds_write_b64 v47, v[2:3] offset:416
	s_waitcnt lgkmcnt(0)
	s_barrier
	ds_read2_b64 v[46:49], v0 offset0:20 offset1:254
	v_add_u32_e32 v0, 0x1d00, v74
	ds_read2_b64 v[42:45], v74 offset1:234
	ds_read2_b64 v[56:59], v0 offset0:8 offset1:242
	ds_read_b64 v[64:65], v74 offset:11232
                                        ; implicit-def: $vgpr52
	s_and_saveexec_b64 s[0:1], s[2:3]
	s_cbranch_execz .LBB0_13
; %bb.12:
	v_add_u32_e32 v2, 0x1400, v74
	ds_read2_b64 v[38:41], v2 offset0:10 offset1:244
	v_add_u32_e32 v2, 0x2280, v74
	v_add_u32_e32 v0, 0x580, v74
	ds_read2_b64 v[34:37], v2 offset0:14 offset1:248
	ds_read2_b64 v[50:53], v0 offset0:6 offset1:240
	ds_read_b64 v[68:69], v74 offset:12688
	s_waitcnt lgkmcnt(3)
	v_mov_b32_e32 v54, v40
	v_mov_b32_e32 v55, v41
	s_waitcnt lgkmcnt(2)
	v_mov_b32_e32 v40, v34
	v_mov_b32_e32 v41, v35
	;; [unrolled: 3-line block ×3, first 2 shown]
	v_mov_b32_e32 v51, v53
	s_waitcnt lgkmcnt(0)
	v_mov_b32_e32 v52, v69
.LBB0_13:
	s_or_b64 exec, exec, s[0:1]
	v_lshrrev_b16_e32 v0, 1, v250
	v_and_b32_e32 v0, 0x7f, v0
	v_mul_lo_u16_e32 v0, 0xd3, v0
	v_lshrrev_b16_e32 v75, 13, v0
	v_lshrrev_b16_e32 v0, 1, v62
	v_mul_u32_u24_e32 v0, 0x6907, v0
	v_lshrrev_b32_e32 v0, 20, v0
	v_mul_lo_u16_e32 v0, 0x4e, v0
	v_sub_u16_e32 v76, v62, v0
	v_mul_lo_u16_e32 v8, 0x4e, v75
	v_mul_lo_u16_e32 v0, 48, v76
	v_sub_u16_e32 v8, v250, v8
	v_lshl_add_u64 v[70:71], s[10:11], 0, v[0:1]
	v_and_b32_e32 v77, 0xff, v8
	global_load_dwordx4 v[4:7], v[70:71], off offset:552
	global_load_dwordx4 v[0:3], v[70:71], off offset:536
	v_mad_u64_u32 v[72:73], s[0:1], v77, 48, s[10:11]
	global_load_dwordx4 v[32:35], v[72:73], off offset:536
	global_load_dwordx4 v[28:31], v[72:73], off offset:520
	;; [unrolled: 1-line block ×4, first 2 shown]
	v_mov_b32_e32 v72, v55
	v_mov_b32_e32 v92, v37
	;; [unrolled: 1-line block ×6, first 2 shown]
	s_mov_b32 s26, 0x3f4a47b2
	s_mov_b32 s28, 0x3d64c772
	;; [unrolled: 1-line block ×8, first 2 shown]
	s_waitcnt lgkmcnt(0)
	s_barrier
	s_waitcnt vmcnt(5)
	v_pk_mul_f32 v[92:93], v[92:93], v[4:5] op_sel_hi:[0,1]
	s_waitcnt vmcnt(4)
	v_pk_mul_f32 v[72:73], v[72:73], v[0:1] op_sel:[0,1] op_sel_hi:[0,0]
	v_mov_b32_e32 v94, v3
	v_mov_b32_e32 v95, v2
	;; [unrolled: 1-line block ×4, first 2 shown]
	s_waitcnt vmcnt(3)
	v_mul_f32_e32 v67, v56, v35
	s_waitcnt vmcnt(2)
	v_mul_f32_e32 v69, v47, v31
	s_waitcnt vmcnt(0)
	v_pk_mul_f32 v[50:51], v[50:51], v[8:9] op_sel:[0,1] op_sel_hi:[0,0]
	v_pk_mul_f32 v[102:103], v[38:39], v[10:11] op_sel:[1,0]
	v_pk_fma_f32 v[104:105], v[54:55], v[0:1], v[72:73] neg_lo:[0,0,1] neg_hi:[0,0,1]
	v_pk_fma_f32 v[54:55], v[54:55], v[0:1], v[72:73] op_sel_hi:[0,1,1]
	v_pk_mul_f32 v[72:73], v[90:91], v[94:95] op_sel_hi:[0,1]
	v_pk_fma_f32 v[90:91], v[36:37], v[4:5], v[92:93] op_sel:[0,0,1] op_sel_hi:[1,1,0] neg_lo:[0,0,1] neg_hi:[0,0,1]
	v_pk_fma_f32 v[36:37], v[36:37], v[4:5], v[92:93] op_sel:[0,0,1] op_sel_hi:[0,1,0]
	v_pk_mul_f32 v[52:53], v[52:53], v[96:97] op_sel_hi:[0,1]
	v_mul_f32_e32 v41, v57, v34
	v_pk_fma_f32 v[92:93], v[66:67], v[8:9], v[50:51] neg_lo:[0,0,1] neg_hi:[0,0,1]
	v_pk_fma_f32 v[50:51], v[66:67], v[8:9], v[50:51] op_sel_hi:[0,1,1]
	v_pk_fma_f32 v[94:95], v[38:39], v[10:11], v[102:103] op_sel:[0,0,1] op_sel_hi:[1,1,0] neg_lo:[0,0,1] neg_hi:[0,0,1]
	v_pk_fma_f32 v[38:39], v[38:39], v[10:11], v[102:103] op_sel:[0,0,1] op_sel_hi:[0,1,0]
	v_mov_b32_e32 v91, v37
	v_pk_fma_f32 v[36:37], v[68:69], v[6:7], v[52:53] neg_lo:[0,0,1] neg_hi:[0,0,1]
	v_pk_fma_f32 v[52:53], v[68:69], v[6:7], v[52:53] op_sel_hi:[0,1,1]
	v_mov_b32_e32 v105, v55
	v_pk_fma_f32 v[54:55], v[40:41], v[2:3], v[72:73] neg_lo:[0,0,1] neg_hi:[0,0,1]
	v_pk_fma_f32 v[72:73], v[40:41], v[2:3], v[72:73] op_sel_hi:[0,1,1]
	v_mov_b32_e32 v93, v51
	v_mov_b32_e32 v95, v39
	;; [unrolled: 1-line block ×4, first 2 shown]
	v_pk_add_f32 v[38:39], v[92:93], v[36:37]
	v_pk_add_f32 v[50:51], v[94:95], v[90:91]
	v_fma_f32 v98, v46, v30, -v69
	v_pk_add_f32 v[68:69], v[104:105], v[54:55]
	v_pk_add_f32 v[72:73], v[50:51], v[38:39]
	v_pk_add_f32 v[36:37], v[92:93], v[36:37] neg_lo:[0,1] neg_hi:[0,1]
	v_pk_add_f32 v[52:53], v[94:95], v[90:91] neg_lo:[0,1] neg_hi:[0,1]
	;; [unrolled: 1-line block ×6, first 2 shown]
	v_mov_b32_e32 v97, v69
	v_mov_b32_e32 v96, v72
	;; [unrolled: 1-line block ×3, first 2 shown]
	v_pk_add_f32 v[92:93], v[54:55], v[52:53] op_sel:[1,1] op_sel_hi:[0,0]
	v_pk_add_f32 v[94:95], v[54:55], v[52:53] op_sel:[1,1] op_sel_hi:[0,0] neg_lo:[0,1] neg_hi:[0,1]
	v_pk_add_f32 v[54:55], v[36:37], v[54:55] op_sel:[1,1] op_sel_hi:[0,0] neg_lo:[0,1] neg_hi:[0,1]
	;; [unrolled: 1-line block ×3, first 2 shown]
	v_pk_add_f32 v[68:69], v[96:97], v[68:69]
	v_pk_add_f32 v[72:73], v[92:93], v[36:37] op_sel:[0,1] op_sel_hi:[1,0]
	v_pk_mul_f32 v[38:39], v[38:39], s[26:27] op_sel_hi:[1,0]
	v_pk_mul_f32 v[92:93], v[50:51], s[28:29] op_sel_hi:[1,0]
	;; [unrolled: 1-line block ×4, first 2 shown]
	v_pk_add_f32 v[36:37], v[70:71], v[68:69]
	v_pk_fma_f32 v[70:71], v[90:91], s[20:21], v[92:93] op_sel_hi:[1,0,1] neg_lo:[0,0,1] neg_hi:[0,0,1]
	v_pk_fma_f32 v[68:69], v[68:69], s[24:25], v[36:37] op_sel_hi:[1,0,1] neg_lo:[1,0,0] neg_hi:[1,0,0]
	v_pk_fma_f32 v[90:91], v[90:91], s[20:21], v[38:39] op_sel_hi:[1,0,1] neg_lo:[1,0,1] neg_hi:[1,0,1]
	v_pk_fma_f32 v[92:93], v[94:95], s[34:35], v[52:53] op_sel_hi:[1,0,1] neg_lo:[1,0,0] neg_hi:[1,0,0]
	v_pk_fma_f32 v[52:53], v[54:55], s[30:31], v[52:53] op_sel_hi:[1,0,1] neg_lo:[1,0,1] neg_hi:[1,0,1]
	v_pk_fma_f32 v[38:39], v[50:51], s[28:29], v[38:39] op_sel_hi:[1,0,1]
	v_pk_fma_f32 v[50:51], v[94:95], s[34:35], v[102:103] op_sel_hi:[1,0,1]
	v_pk_add_f32 v[54:55], v[70:71], v[68:69]
	v_pk_add_f32 v[70:71], v[90:91], v[68:69]
	;; [unrolled: 1-line block ×3, first 2 shown]
	v_pk_fma_f32 v[90:91], v[72:73], s[0:1], v[50:51] op_sel_hi:[1,0,1]
	v_pk_fma_f32 v[38:39], v[72:73], s[0:1], v[92:93] op_sel_hi:[1,0,1]
	;; [unrolled: 1-line block ×3, first 2 shown]
	v_mov_b32_e32 v96, v30
	v_pk_add_f32 v[72:73], v[70:71], v[50:51]
	v_pk_add_f32 v[94:95], v[70:71], v[50:51] neg_lo:[0,1] neg_hi:[0,1]
	v_pk_add_f32 v[70:71], v[54:55], v[38:39] neg_lo:[0,1] neg_hi:[0,1]
	v_pk_add_f32 v[54:55], v[54:55], v[38:39]
	v_mov_b32_e32 v52, v70
	v_mov_b32_e32 v53, v55
	;; [unrolled: 1-line block ×3, first 2 shown]
	v_pk_mul_f32 v[70:71], v[44:45], v[28:29] op_sel_hi:[1,0]
	v_mov_b32_e32 v50, v72
	v_mov_b32_e32 v51, v95
	;; [unrolled: 1-line block ×3, first 2 shown]
	v_pk_fma_f32 v[72:73], v[44:45], v[28:29], v[70:71] op_sel:[0,1,1] op_sel_hi:[1,1,0]
	v_pk_fma_f32 v[44:45], v[44:45], v[28:29], v[70:71] op_sel:[0,1,1] op_sel_hi:[1,1,0] neg_lo:[1,0,0] neg_hi:[1,0,0]
	v_mov_b32_e32 v70, v47
	v_mov_b32_e32 v71, v56
	v_mov_b32_e32 v47, v57
	v_mov_b32_e32 v56, v31
	v_mov_b32_e32 v57, v35
	v_mov_b32_e32 v97, v34
	v_pk_mul_f32 v[46:47], v[46:47], v[56:57]
	v_mul_f32_e32 v99, v49, v32
	v_mul_f32_e32 v101, v48, v33
	;; [unrolled: 1-line block ×3, first 2 shown]
	v_pk_add_f32 v[38:39], v[68:69], v[90:91] neg_lo:[0,1] neg_hi:[0,1]
	v_pk_fma_f32 v[56:57], v[70:71], v[30:31], v[46:47]
	v_pk_fma_f32 v[46:47], v[70:71], v[96:97], v[46:47] neg_lo:[0,0,1] neg_hi:[0,0,1]
	v_mov_b32_e32 v70, v59
	v_mov_b32_e32 v71, v48
	;; [unrolled: 1-line block ×5, first 2 shown]
	v_accvgpr_write_b32 a16, v38
	v_mul_u32_u24_e32 v38, 0x222, v75
	v_mov_b32_e32 v96, v24
	v_mov_b32_e32 v97, v32
	v_pk_mul_f32 v[48:49], v[58:59], v[48:49]
	v_fma_f32 v100, v58, v24, -v78
	v_add_lshl_u32 v75, v38, v77, 3
	v_pk_fma_f32 v[58:59], v[70:71], v[24:25], v[48:49]
	v_pk_fma_f32 v[48:49], v[70:71], v[96:97], v[48:49] neg_lo:[0,0,1] neg_hi:[0,0,1]
	v_pk_mul_f32 v[70:71], v[64:65], v[26:27] op_sel_hi:[1,0]
	v_mov_b32_e32 v38, v27
	v_pk_fma_f32 v[96:97], v[64:65], v[38:39], v[70:71] op_sel:[0,0,1] op_sel_hi:[1,0,0]
	v_pk_fma_f32 v[64:65], v[64:65], v[38:39], v[70:71] op_sel:[0,0,1] op_sel_hi:[1,0,0] neg_lo:[1,0,0] neg_hi:[1,0,0]
	v_mov_b32_e32 v73, v45
	v_mov_b32_e32 v57, v47
	;; [unrolled: 1-line block ×6, first 2 shown]
	v_pk_add_f32 v[90:91], v[68:69], v[90:91]
	v_pk_add_f32 v[68:69], v[98:99], v[100:101]
	;; [unrolled: 1-line block ×3, first 2 shown]
	v_pk_add_f32 v[72:73], v[72:73], v[96:97] neg_lo:[0,1] neg_hi:[0,1]
	v_pk_add_f32 v[96:97], v[56:57], v[58:59]
	v_pk_add_f32 v[40:41], v[40:41], v[66:67]
	v_pk_add_f32 v[56:57], v[56:57], v[58:59] neg_lo:[0,1] neg_hi:[0,1]
	v_mov_b32_e32 v44, v41
	v_mov_b32_e32 v45, v98
	;; [unrolled: 1-line block ×8, first 2 shown]
	v_pk_add_f32 v[44:45], v[44:45], v[58:59] neg_lo:[0,1] neg_hi:[0,1]
	v_pk_add_f32 v[100:101], v[68:69], v[40:41]
	v_pk_add_f32 v[46:47], v[48:49], v[46:47]
	v_mov_b32_e32 v66, v44
	v_mov_b32_e32 v67, v73
	;; [unrolled: 1-line block ×7, first 2 shown]
	v_pk_add_f32 v[66:67], v[66:67], v[56:57] neg_lo:[0,1] neg_hi:[0,1]
	s_mov_b32 s35, s30
	v_pk_add_f32 v[48:49], v[48:49], v[68:69] neg_lo:[0,1] neg_hi:[0,1]
	v_mov_b32_e32 v41, v101
	v_mov_b32_e32 v102, v46
	;; [unrolled: 1-line block ×3, first 2 shown]
	v_pk_add_f32 v[46:47], v[100:101], v[46:47]
	s_mov_b32 s29, s26
	v_pk_add_f32 v[58:59], v[58:59], v[44:45] neg_lo:[0,1] neg_hi:[0,1]
	s_mov_b32 s31, s34
	v_pk_mul_f32 v[66:67], v[66:67], s[34:35]
	v_pk_add_f32 v[98:99], v[56:57], v[44:45]
	v_pk_add_f32 v[102:103], v[40:41], v[102:103] neg_lo:[0,1] neg_hi:[0,1]
	v_pk_add_f32 v[42:43], v[42:43], v[46:47]
	v_pk_mul_f32 v[48:49], v[48:49], s[28:29]
	s_mov_b32 s27, s28
	v_pk_mul_f32 v[64:65], v[58:59], s[30:31]
	v_pk_add_f32 v[98:99], v[98:99], v[72:73]
	v_pk_mul_f32 v[100:101], v[102:103], s[26:27]
	v_pk_fma_f32 v[46:47], v[46:47], s[24:25], v[42:43] op_sel_hi:[1,0,1] neg_lo:[1,0,0] neg_hi:[1,0,0]
	v_pk_fma_f32 v[102:103], v[102:103], s[26:27], v[48:49]
	v_pk_fma_f32 v[58:59], v[58:59], s[30:31], v[66:67]
	v_pk_add_f32 v[102:103], v[102:103], v[46:47]
	v_pk_fma_f32 v[58:59], v[98:99], s[0:1], v[58:59] op_sel_hi:[1,0,1]
	v_mov_b32_e32 v57, v45
	v_pk_add_f32 v[104:105], v[102:103], v[58:59]
	v_pk_add_f32 v[58:59], v[102:103], v[58:59] neg_lo:[0,1] neg_hi:[0,1]
	v_mov_b32_e32 v102, v104
	v_mov_b32_e32 v103, v59
	;; [unrolled: 1-line block ×4, first 2 shown]
	ds_write2_b64 v75, v[42:43], v[102:103] offset1:78
	v_pk_add_f32 v[42:43], v[56:57], v[72:73] neg_lo:[0,1] neg_hi:[0,1]
	v_pk_add_f32 v[40:41], v[68:69], v[40:41] neg_lo:[0,1] neg_hi:[0,1]
	v_mov_b32_e32 v44, v100
	v_mov_b32_e32 v45, v49
	;; [unrolled: 1-line block ×6, first 2 shown]
	v_pk_fma_f32 v[44:45], v[40:41], s[20:21], v[44:45] op_sel_hi:[1,0,1] neg_lo:[1,0,1] neg_hi:[1,0,1]
	v_pk_fma_f32 v[56:57], v[42:43], s[22:23], v[56:57] op_sel_hi:[1,0,1] neg_lo:[1,0,1] neg_hi:[1,0,1]
	;; [unrolled: 1-line block ×4, first 2 shown]
	v_pk_add_f32 v[44:45], v[44:45], v[46:47]
	v_pk_fma_f32 v[56:57], v[98:99], s[0:1], v[56:57] op_sel_hi:[1,0,1]
	v_pk_add_f32 v[40:41], v[40:41], v[46:47]
	v_pk_fma_f32 v[42:43], v[98:99], s[0:1], v[42:43] op_sel_hi:[1,0,1]
	v_pk_add_f32 v[68:69], v[44:45], v[56:57]
	v_pk_add_f32 v[44:45], v[44:45], v[56:57] neg_lo:[0,1] neg_hi:[0,1]
	v_pk_add_f32 v[46:47], v[40:41], v[42:43] neg_lo:[0,1] neg_hi:[0,1]
	v_pk_add_f32 v[40:41], v[40:41], v[42:43]
	v_mov_b32_e32 v57, v45
	v_mov_b32_e32 v43, v41
	;; [unrolled: 1-line block ×4, first 2 shown]
	v_add_u32_e32 v38, 0x800, v75
	ds_write2_b64 v38, v[40:41], v[44:45] offset0:56 offset1:134
	v_lshlrev_b32_e32 v38, 3, v76
	v_accvgpr_write_b32 a17, v91
	v_mov_b32_e32 v56, v68
	v_mov_b32_e32 v42, v46
	;; [unrolled: 1-line block ×3, first 2 shown]
	v_accvgpr_write_b32 a18, v75
	v_accvgpr_write_b32 a15, v38
	ds_write2_b64 v75, v[56:57], v[42:43] offset0:156 offset1:234
	ds_write_b64 v75, v[58:59] offset:3744
	s_and_saveexec_b64 s[0:1], s[2:3]
	s_cbranch_execz .LBB0_15
; %bb.14:
	v_accvgpr_read_b32 v41, a15
	v_mov_b32_e32 v38, v90
	v_add_u32_e32 v40, 0x2000, v41
	ds_write2_b64 v40, v[36:37], v[38:39] offset0:68 offset1:146
	v_add_u32_e32 v36, 0x2400, v41
	ds_write2_b64 v36, v[50:51], v[52:53] offset0:96 offset1:174
	;; [unrolled: 2-line block ×3, first 2 shown]
	ds_write_b64 v41, a[16:17] offset:12480
.LBB0_15:
	s_or_b64 exec, exec, s[0:1]
	v_lshlrev_b32_e32 v96, 4, v250
	v_mov_b32_e32 v97, 0
	v_lshl_add_u64 v[36:37], s[10:11], 0, v[96:97]
	v_add_co_u32_e32 v36, vcc, 0x1000, v36
	s_waitcnt lgkmcnt(0)
	s_nop 0
	v_addc_co_u32_e32 v37, vcc, 0, v37, vcc
	s_barrier
	global_load_dwordx4 v[44:47], v[36:37], off offset:168
	v_lshl_add_u64 v[36:37], v[62:63], 4, s[10:11]
	v_add_co_u32_e32 v36, vcc, 0x1000, v36
	v_add_u32_e32 v75, 0xa00, v74
	s_nop 0
	v_addc_co_u32_e32 v37, vcc, 0, v37, vcc
	global_load_dwordx4 v[40:43], v[36:37], off offset:168
	v_lshl_add_u64 v[36:37], v[60:61], 4, s[10:11]
	v_add_co_u32_e32 v36, vcc, 0x1000, v36
	v_add_u32_e32 v60, 0x2000, v74
	s_nop 0
	v_addc_co_u32_e32 v37, vcc, 0, v37, vcc
	global_load_dwordx4 v[36:39], v[36:37], off offset:168
	v_add_u32_e32 v61, 0x1600, v74
	ds_read_b64 v[48:49], v74 offset:11648
	ds_read2_b64 v[64:67], v74 offset1:182
	ds_read2_b64 v[68:71], v75 offset0:44 offset1:226
	ds_read2_b64 v[56:59], v60 offset0:68 offset1:250
	;; [unrolled: 1-line block ×3, first 2 shown]
	s_mov_b32 s0, 0x3f5db3d7
	s_waitcnt vmcnt(2)
	v_mov_b32_e32 v62, v47
	s_waitcnt lgkmcnt(2)
	v_pk_mul_f32 v[72:73], v[70:71], v[44:45] op_sel:[0,1]
	s_waitcnt lgkmcnt(1)
	v_pk_mul_f32 v[62:63], v[56:57], v[62:63] op_sel_hi:[1,0]
	v_pk_fma_f32 v[102:103], v[70:71], v[44:45], v[72:73] op_sel:[0,0,1] op_sel_hi:[1,1,0] neg_lo:[0,0,1] neg_hi:[0,0,1]
	v_pk_fma_f32 v[70:71], v[70:71], v[44:45], v[72:73] op_sel:[0,0,1] op_sel_hi:[1,0,0]
	v_pk_fma_f32 v[104:105], v[56:57], v[46:47], v[62:63] op_sel:[0,0,1] op_sel_hi:[1,1,0] neg_lo:[0,0,1] neg_hi:[0,0,1]
	v_pk_fma_f32 v[56:57], v[56:57], v[46:47], v[62:63] op_sel:[0,0,1] op_sel_hi:[1,0,0]
	s_waitcnt vmcnt(1) lgkmcnt(0)
	v_pk_mul_f32 v[72:73], v[98:99], v[40:41] op_sel:[0,1]
	v_mov_b32_e32 v70, v43
	v_mov_b32_e32 v103, v71
	v_pk_fma_f32 v[62:63], v[98:99], v[40:41], v[72:73] op_sel:[0,0,1] op_sel_hi:[1,1,0] neg_lo:[0,0,1] neg_hi:[0,0,1]
	v_pk_fma_f32 v[72:73], v[98:99], v[40:41], v[72:73] op_sel:[0,0,1] op_sel_hi:[1,0,0]
	v_pk_mul_f32 v[70:71], v[58:59], v[70:71] op_sel_hi:[1,0]
	v_mov_b32_e32 v105, v57
	s_waitcnt vmcnt(0)
	v_pk_mul_f32 v[98:99], v[100:101], v[36:37] op_sel:[0,1]
	v_mov_b32_e32 v56, v39
	v_pk_add_f32 v[106:107], v[64:65], v[102:103]
	v_mov_b32_e32 v63, v73
	v_pk_fma_f32 v[72:73], v[58:59], v[42:43], v[70:71] op_sel:[0,0,1] op_sel_hi:[1,1,0] neg_lo:[0,0,1] neg_hi:[0,0,1]
	v_pk_fma_f32 v[58:59], v[58:59], v[42:43], v[70:71] op_sel:[0,0,1] op_sel_hi:[1,0,0]
	v_pk_fma_f32 v[70:71], v[100:101], v[36:37], v[98:99] op_sel:[1,0,0] op_sel_hi:[0,1,1]
	v_pk_fma_f32 v[98:99], v[100:101], v[36:37], v[98:99] op_sel:[1,0,0] op_sel_hi:[0,0,1] neg_lo:[0,0,1] neg_hi:[0,0,1]
	v_pk_mul_f32 v[100:101], v[48:49], v[56:57] op_sel_hi:[1,0]
	v_pk_add_f32 v[108:109], v[102:103], v[104:105]
	v_pk_add_f32 v[102:103], v[102:103], v[104:105] neg_lo:[0,1] neg_hi:[0,1]
	v_pk_add_f32 v[56:57], v[106:107], v[104:105]
	v_mov_b32_e32 v73, v59
	v_pk_add_f32 v[58:59], v[66:67], v[62:63]
	v_mov_b32_e32 v71, v99
	v_pk_fma_f32 v[104:105], v[48:49], v[38:39], v[100:101] op_sel:[1,0,0] op_sel_hi:[0,1,1]
	v_pk_fma_f32 v[48:49], v[48:49], v[38:39], v[100:101] op_sel:[1,0,0] op_sel_hi:[0,0,1] neg_lo:[0,0,1] neg_hi:[0,0,1]
	v_mov_b32_e32 v98, v99
	v_mov_b32_e32 v99, v70
	v_pk_fma_f32 v[100:101], v[108:109], 0.5, v[64:65] op_sel_hi:[1,0,1] neg_lo:[1,0,0] neg_hi:[1,0,0]
	v_pk_mul_f32 v[102:103], v[102:103], s[0:1] op_sel_hi:[1,0]
	v_pk_add_f32 v[64:65], v[58:59], v[72:73]
	v_pk_add_f32 v[58:59], v[62:63], v[72:73]
	v_mov_b32_e32 v105, v49
	v_pk_add_f32 v[106:107], v[68:69], v[98:99]
	v_mov_b32_e32 v48, v49
	v_mov_b32_e32 v49, v104
	v_pk_add_f32 v[72:73], v[62:63], v[72:73] neg_lo:[0,1] neg_hi:[0,1]
	v_pk_add_f32 v[108:109], v[100:101], v[102:103] op_sel:[0,1] op_sel_hi:[1,0]
	v_pk_add_f32 v[62:63], v[100:101], v[102:103] op_sel:[0,1] op_sel_hi:[1,0] neg_lo:[0,1] neg_hi:[0,1]
	v_pk_fma_f32 v[100:101], v[58:59], 0.5, v[66:67] op_sel_hi:[1,0,1] neg_lo:[1,0,0] neg_hi:[1,0,0]
	v_pk_add_f32 v[66:67], v[106:107], v[48:49]
	v_pk_add_f32 v[48:49], v[98:99], v[48:49]
	v_pk_mul_f32 v[72:73], v[72:73], s[0:1] op_sel_hi:[1,0]
	v_pk_add_f32 v[98:99], v[70:71], v[104:105] neg_lo:[0,1] neg_hi:[0,1]
	v_pk_fma_f32 v[48:49], v[48:49], 0.5, v[68:69] op_sel_hi:[1,0,1] neg_lo:[1,0,0] neg_hi:[1,0,0]
	v_pk_add_f32 v[102:103], v[100:101], v[72:73] op_sel:[0,1] op_sel_hi:[1,0] neg_lo:[0,1] neg_hi:[0,1]
	v_pk_add_f32 v[70:71], v[100:101], v[72:73] op_sel:[0,1] op_sel_hi:[1,0]
	v_pk_fma_f32 v[100:101], v[98:99], s[0:1], v[48:49] op_sel_hi:[1,0,1]
	v_pk_fma_f32 v[48:49], v[98:99], s[0:1], v[48:49] op_sel_hi:[1,0,1] neg_lo:[1,0,0] neg_hi:[1,0,0]
	v_mov_b32_e32 v58, v108
	v_mov_b32_e32 v59, v63
	;; [unrolled: 1-line block ×9, first 2 shown]
	ds_write2_b64 v74, v[56:57], v[64:65] offset1:182
	ds_write2_b64 v60, v[62:63], v[72:73] offset0:68 offset1:250
	ds_write2_b64 v75, v[66:67], v[58:59] offset0:44 offset1:226
	ds_write2_b64 v61, v[70:71], v[68:69] offset0:24 offset1:206
	ds_write_b64 v74, v[48:49] offset:11648
	s_waitcnt lgkmcnt(0)
	s_barrier
	s_and_saveexec_b64 s[0:1], s[8:9]
	s_cbranch_execz .LBB0_17
; %bb.16:
	v_mov_b32_e32 v75, v97
	v_lshl_add_u64 v[100:101], s[16:17], 0, v[74:75]
	v_add_co_u32_e32 v98, vcc, 0x3000, v100
	ds_read_b64 v[96:97], v74
	s_nop 0
	v_addc_co_u32_e32 v99, vcc, 0, v101, vcc
	global_load_dwordx2 v[98:99], v[98:99], off offset:816
	s_mov_b64 s[10:11], 0x3330
	v_lshl_add_u64 v[102:103], v[100:101], 0, s[10:11]
	s_movk_i32 s10, 0x4000
	s_waitcnt vmcnt(0) lgkmcnt(0)
	v_mul_f32_e32 v61, v97, v99
	v_mul_f32_e32 v105, v96, v99
	v_fma_f32 v104, v96, v98, -v61
	v_fmac_f32_e32 v105, v97, v98
	ds_write_b64 v74, v[104:105]
	global_load_dwordx2 v[104:105], v[102:103], off offset:1008
	ds_read2_b64 v[96:99], v74 offset0:126 offset1:252
	s_waitcnt vmcnt(0) lgkmcnt(0)
	v_mul_f32_e32 v61, v97, v105
	v_mul_f32_e32 v107, v96, v105
	v_fma_f32 v106, v96, v104, -v61
	v_fmac_f32_e32 v107, v97, v104
	global_load_dwordx2 v[96:97], v[102:103], off offset:2016
	s_waitcnt vmcnt(0)
	v_mul_f32_e32 v61, v99, v97
	v_mul_f32_e32 v105, v98, v97
	v_fma_f32 v104, v98, v96, -v61
	v_fmac_f32_e32 v105, v99, v96
	ds_write2_b64 v74, v[106:107], v[104:105] offset0:126 offset1:252
	global_load_dwordx2 v[104:105], v[102:103], off offset:3024
	v_add_u32_e32 v61, 0x800, v74
	ds_read2_b64 v[96:99], v61 offset0:122 offset1:248
	s_waitcnt vmcnt(0) lgkmcnt(0)
	v_mul_f32_e32 v75, v97, v105
	v_mul_f32_e32 v107, v96, v105
	v_fma_f32 v106, v96, v104, -v75
	v_fmac_f32_e32 v107, v97, v104
	global_load_dwordx2 v[96:97], v[102:103], off offset:4032
	s_waitcnt vmcnt(0)
	v_mul_f32_e32 v75, v99, v97
	v_mul_f32_e32 v103, v98, v97
	v_fma_f32 v102, v98, v96, -v75
	v_fmac_f32_e32 v103, v99, v96
	ds_write2_b64 v61, v[106:107], v[102:103] offset0:122 offset1:248
	v_add_co_u32_e32 v102, vcc, s10, v100
	v_add_u32_e32 v61, 0x1000, v74
	s_nop 0
	v_addc_co_u32_e32 v103, vcc, 0, v101, vcc
	global_load_dwordx2 v[104:105], v[102:103], off offset:1760
	ds_read2_b64 v[96:99], v61 offset0:118 offset1:244
	s_movk_i32 s10, 0x5000
	s_waitcnt vmcnt(0) lgkmcnt(0)
	v_mul_f32_e32 v75, v97, v105
	v_mul_f32_e32 v107, v96, v105
	v_fma_f32 v106, v96, v104, -v75
	v_fmac_f32_e32 v107, v97, v104
	global_load_dwordx2 v[96:97], v[102:103], off offset:2768
	s_waitcnt vmcnt(0)
	v_mul_f32_e32 v75, v99, v97
	global_load_dwordx2 v[102:103], v[102:103], off offset:3776
	v_mul_f32_e32 v105, v98, v97
	v_fma_f32 v104, v98, v96, -v75
	v_fmac_f32_e32 v105, v99, v96
	ds_write2_b64 v61, v[106:107], v[104:105] offset0:118 offset1:244
	v_add_u32_e32 v61, 0x1800, v74
	ds_read2_b64 v[96:99], v61 offset0:114 offset1:240
	s_waitcnt vmcnt(0) lgkmcnt(0)
	v_mul_f32_e32 v75, v97, v103
	v_mul_f32_e32 v105, v96, v103
	v_fma_f32 v104, v96, v102, -v75
	v_fmac_f32_e32 v105, v97, v102
	v_add_co_u32_e32 v102, vcc, s10, v100
	s_nop 1
	v_addc_co_u32_e32 v103, vcc, 0, v101, vcc
	global_load_dwordx2 v[96:97], v[102:103], off offset:688
	s_waitcnt vmcnt(0)
	v_mul_f32_e32 v75, v99, v97
	v_mul_f32_e32 v107, v98, v97
	v_fma_f32 v106, v98, v96, -v75
	v_fmac_f32_e32 v107, v99, v96
	ds_write2_b64 v61, v[104:105], v[106:107] offset0:114 offset1:240
	global_load_dwordx2 v[104:105], v[102:103], off offset:1696
	ds_read2_b64 v[96:99], v60 offset0:110 offset1:236
	v_add_u32_e32 v75, 0x2800, v74
	s_waitcnt vmcnt(0) lgkmcnt(0)
	v_mul_f32_e32 v61, v97, v105
	v_mul_f32_e32 v107, v96, v105
	v_fma_f32 v106, v96, v104, -v61
	v_fmac_f32_e32 v107, v97, v104
	global_load_dwordx2 v[96:97], v[102:103], off offset:2704
	s_waitcnt vmcnt(0)
	v_mul_f32_e32 v61, v99, v97
	v_mul_f32_e32 v105, v98, v97
	v_fma_f32 v104, v98, v96, -v61
	v_fmac_f32_e32 v105, v99, v96
	ds_write2_b64 v60, v[106:107], v[104:105] offset0:110 offset1:236
	global_load_dwordx2 v[60:61], v[102:103], off offset:3712
	ds_read2_b64 v[96:99], v75 offset0:106 offset1:232
	s_waitcnt vmcnt(0) lgkmcnt(0)
	v_mul_f32_e32 v76, v97, v61
	v_mul_f32_e32 v103, v96, v61
	v_fma_f32 v102, v96, v60, -v76
	v_fmac_f32_e32 v103, v97, v60
	v_add_co_u32_e32 v60, vcc, 0x6000, v100
	s_nop 1
	v_addc_co_u32_e32 v61, vcc, 0, v101, vcc
	global_load_dwordx2 v[60:61], v[60:61], off offset:624
	s_waitcnt vmcnt(0)
	v_mul_f32_e32 v76, v99, v61
	v_mul_f32_e32 v97, v98, v61
	v_fma_f32 v96, v98, v60, -v76
	v_fmac_f32_e32 v97, v99, v60
	ds_write2_b64 v75, v[102:103], v[96:97] offset0:106 offset1:232
.LBB0_17:
	s_or_b64 exec, exec, s[0:1]
	s_waitcnt lgkmcnt(0)
	s_barrier
	s_and_saveexec_b64 s[0:1], s[8:9]
	s_cbranch_execz .LBB0_19
; %bb.18:
	v_add_u32_e32 v48, 0x400, v74
	ds_read2_b64 v[62:65], v48 offset0:124 offset1:250
	v_add_u32_e32 v48, 0xc00, v74
	ds_read2_b64 v[70:73], v48 offset0:120 offset1:246
	;; [unrolled: 2-line block ×3, first 2 shown]
	v_add_u32_e32 v48, 0x1c00, v74
	v_add_u32_e32 v52, 0x2400, v74
	ds_read2_b64 v[56:59], v74 offset1:126
	ds_read2_b64 v[48:51], v48 offset0:112 offset1:238
	ds_read2_b64 v[52:55], v52 offset0:108 offset1:234
	ds_read_b64 v[94:95], v74 offset:12096
.LBB0_19:
	s_or_b64 exec, exec, s[0:1]
	s_waitcnt lgkmcnt(0)
	v_pk_add_f32 v[60:61], v[58:59], v[94:95] neg_lo:[0,1] neg_hi:[0,1]
	v_pk_add_f32 v[112:113], v[58:59], v[94:95]
	v_mov_b32_e32 v101, v60
	v_mov_b32_e32 v100, v112
	v_mov_b32_e32 v112, v61
	v_pk_add_f32 v[60:61], v[62:63], v[54:55] neg_lo:[0,1] neg_hi:[0,1]
	v_pk_add_f32 v[114:115], v[62:63], v[54:55]
	v_mov_b32_e32 v103, v60
	v_mov_b32_e32 v102, v114
	v_mov_b32_e32 v114, v61
	v_pk_add_f32 v[60:61], v[64:65], v[52:53] neg_lo:[0,1] neg_hi:[0,1]
	v_pk_add_f32 v[116:117], v[64:65], v[52:53]
	v_mov_b32_e32 v105, v60
	v_mov_b32_e32 v104, v116
	v_mov_b32_e32 v116, v61
	v_pk_add_f32 v[60:61], v[70:71], v[50:51] neg_lo:[0,1] neg_hi:[0,1]
	v_pk_add_f32 v[118:119], v[70:71], v[50:51]
	v_mov_b32_e32 v107, v60
	v_mov_b32_e32 v106, v118
	v_mov_b32_e32 v118, v61
	v_pk_add_f32 v[60:61], v[72:73], v[48:49] neg_lo:[0,1] neg_hi:[0,1]
	v_pk_add_f32 v[120:121], v[72:73], v[48:49]
	s_mov_b32 s11, 0x3f62ad3f
	s_mov_b32 s10, 0xbeedf032
	;; [unrolled: 1-line block ×3, first 2 shown]
	v_mov_b32_e32 v108, v120
	v_mov_b32_e32 v109, v60
	;; [unrolled: 1-line block ×3, first 2 shown]
	v_pk_add_f32 v[60:61], v[66:67], v[68:69] neg_lo:[0,1] neg_hi:[0,1]
	v_pk_add_f32 v[122:123], v[66:67], v[68:69]
	v_pk_mul_f32 v[128:129], v[112:113], s[10:11]
	s_mov_b32 s44, s11
	s_mov_b32 s45, s10
	;; [unrolled: 1-line block ×3, first 2 shown]
	v_mov_b32_e32 v110, v122
	v_mov_b32_e32 v111, v60
	;; [unrolled: 1-line block ×3, first 2 shown]
	v_pk_fma_f32 v[60:61], v[100:101], s[44:45], v[128:129] neg_lo:[0,0,1] neg_hi:[0,0,1]
	v_pk_fma_f32 v[130:131], v[100:101], s[44:45], v[128:129]
	v_pk_mul_f32 v[132:133], v[114:115], s[40:41]
	s_mov_b32 s42, s41
	s_mov_b32 s43, s40
	;; [unrolled: 1-line block ×3, first 2 shown]
	v_mov_b32_e32 v61, v131
	v_pk_fma_f32 v[96:97], v[102:103], s[42:43], v[132:133] neg_lo:[0,0,1] neg_hi:[0,0,1]
	v_pk_fma_f32 v[134:135], v[102:103], s[42:43], v[132:133]
	s_mov_b32 s39, 0x3df6dbef
	v_pk_add_f32 v[60:61], v[56:57], v[60:61]
	v_mov_b32_e32 v97, v135
	v_pk_mul_f32 v[136:137], v[116:117], s[38:39]
	s_mov_b32 s46, s39
	s_mov_b32 s47, s38
	s_mov_b32 s24, 0xbf6f5d39
	v_pk_add_f32 v[60:61], v[96:97], v[60:61]
	v_pk_fma_f32 v[96:97], v[104:105], s[46:47], v[136:137] neg_lo:[0,0,1] neg_hi:[0,0,1]
	v_pk_fma_f32 v[138:139], v[104:105], s[46:47], v[136:137]
	s_mov_b32 s25, 0xbeb58ec6
	v_mov_b32_e32 v97, v139
	v_pk_mul_f32 v[140:141], v[118:119], s[24:25]
	s_mov_b32 s0, s25
	s_mov_b32 s1, s24
	s_mov_b32 s26, 0xbf29c268
	v_pk_add_f32 v[60:61], v[96:97], v[60:61]
	v_pk_fma_f32 v[96:97], v[106:107], s[0:1], v[140:141] neg_lo:[0,0,1] neg_hi:[0,0,1]
	v_pk_fma_f32 v[142:143], v[106:107], s[0:1], v[140:141]
	s_mov_b32 s27, 0xbf3f9e67
	v_mov_b32_e32 v97, v143
	v_pk_mul_f32 v[144:145], v[120:121], s[26:27]
	s_mov_b32 s20, s27
	s_mov_b32 s21, s26
	v_pk_add_f32 v[60:61], v[96:97], v[60:61]
	v_pk_fma_f32 v[96:97], v[108:109], s[20:21], v[144:145] neg_lo:[0,0,1] neg_hi:[0,0,1]
	v_pk_fma_f32 v[146:147], v[108:109], s[20:21], v[144:145]
	v_pk_mul_f32 v[150:151], v[112:113], s[40:41]
	v_mov_b32_e32 v97, v147
	v_pk_add_f32 v[60:61], v[96:97], v[60:61]
	s_mov_b32 s30, 0xbe750f2a
	v_pk_fma_f32 v[96:97], v[100:101], s[42:43], v[150:151] neg_lo:[0,0,1] neg_hi:[0,0,1]
	v_pk_fma_f32 v[148:149], v[100:101], s[42:43], v[150:151]
	v_pk_mul_f32 v[154:155], v[114:115], s[24:25]
	s_mov_b32 s31, 0xbf788fa5
	v_mov_b32_e32 v97, v149
	v_pk_fma_f32 v[98:99], v[102:103], s[0:1], v[154:155] neg_lo:[0,0,1] neg_hi:[0,0,1]
	v_pk_fma_f32 v[152:153], v[102:103], s[0:1], v[154:155]
	s_mov_b32 s22, s31
	s_mov_b32 s23, s30
	v_pk_add_f32 v[96:97], v[56:57], v[96:97]
	v_mov_b32_e32 v99, v153
	v_pk_mul_f32 v[158:159], v[116:117], s[30:31]
	v_pk_add_f32 v[96:97], v[98:99], v[96:97]
	v_pk_fma_f32 v[98:99], v[104:105], s[22:23], v[158:159] neg_lo:[0,0,1] neg_hi:[0,0,1]
	v_pk_fma_f32 v[156:157], v[104:105], s[22:23], v[158:159]
	s_mov_b32 s48, 0x3f29c268
	s_mov_b32 s49, s27
	v_mov_b32_e32 v99, v157
	v_pk_mul_f32 v[160:161], v[118:119], s[48:49]
	s_mov_b32 s50, s27
	s_mov_b32 s51, s48
	v_pk_add_f32 v[96:97], v[98:99], v[96:97]
	v_pk_fma_f32 v[98:99], v[106:107], s[50:51], v[160:161] neg_lo:[0,0,1] neg_hi:[0,0,1]
	v_pk_fma_f32 v[162:163], v[106:107], s[50:51], v[160:161]
	s_mov_b32 s36, 0x3f7e222b
	s_mov_b32 s37, s39
	v_mov_b32_e32 v99, v163
	v_pk_mul_f32 v[164:165], v[120:121], s[36:37]
	s_mov_b32 s28, s39
	s_mov_b32 s29, s36
	v_pk_add_f32 v[96:97], v[98:99], v[96:97]
	v_pk_fma_f32 v[98:99], v[108:109], s[28:29], v[164:165] neg_lo:[0,0,1] neg_hi:[0,0,1]
	v_pk_fma_f32 v[166:167], v[108:109], s[28:29], v[164:165]
	s_mov_b32 s10, 0x3eedf032
	v_mov_b32_e32 v99, v167
	v_pk_mul_f32 v[168:169], v[122:123], s[10:11]
	s_mov_b32 s34, s11
	s_mov_b32 s35, s10
	v_pk_add_f32 v[96:97], v[98:99], v[96:97]
	v_pk_fma_f32 v[98:99], v[110:111], s[34:35], v[168:169] neg_lo:[0,0,1] neg_hi:[0,0,1]
	v_pk_fma_f32 v[172:173], v[110:111], s[34:35], v[168:169]
	v_pk_mul_f32 v[174:175], v[112:113], s[38:39]
	v_mov_b32_e32 v99, v173
	v_pk_add_f32 v[92:93], v[98:99], v[96:97]
	v_pk_fma_f32 v[98:99], v[100:101], s[46:47], v[174:175] neg_lo:[0,0,1] neg_hi:[0,0,1]
	v_pk_fma_f32 v[170:171], v[100:101], s[46:47], v[174:175]
	v_pk_mul_f32 v[178:179], v[114:115], s[30:31]
	v_mov_b32_e32 v99, v171
	v_pk_fma_f32 v[124:125], v[102:103], s[22:23], v[178:179] neg_lo:[0,0,1] neg_hi:[0,0,1]
	v_pk_fma_f32 v[176:177], v[102:103], s[22:23], v[178:179]
	s_mov_b32 s54, 0x3f6f5d39
	s_mov_b32 s55, s25
	v_pk_add_f32 v[98:99], v[56:57], v[98:99]
	v_mov_b32_e32 v125, v177
	v_pk_mul_f32 v[180:181], v[116:117], s[54:55]
	s_mov_b32 s52, s25
	s_mov_b32 s53, s54
	v_pk_add_f32 v[98:99], v[124:125], v[98:99]
	v_pk_fma_f32 v[124:125], v[104:105], s[52:53], v[180:181] neg_lo:[0,0,1] neg_hi:[0,0,1]
	v_pk_fma_f32 v[182:183], v[104:105], s[52:53], v[180:181]
	v_pk_mul_f32 v[190:191], v[118:119], s[10:11]
	v_mov_b32_e32 v125, v183
	v_pk_add_f32 v[98:99], v[124:125], v[98:99]
	v_pk_fma_f32 v[124:125], v[106:107], s[34:35], v[190:191] neg_lo:[0,0,1] neg_hi:[0,0,1]
	v_pk_fma_f32 v[188:189], v[106:107], s[34:35], v[190:191]
	v_pk_mul_f32 v[198:199], v[120:121], s[40:41]
	v_mov_b32_e32 v125, v189
	;; [unrolled: 5-line block ×5, first 2 shown]
	v_pk_fma_f32 v[126:127], v[102:103], s[50:51], v[194:195] neg_lo:[0,0,1] neg_hi:[0,0,1]
	v_pk_fma_f32 v[192:193], v[102:103], s[50:51], v[194:195]
	v_pk_add_f32 v[124:125], v[56:57], v[124:125]
	v_mov_b32_e32 v127, v193
	v_pk_mul_f32 v[202:203], v[116:117], s[10:11]
	v_pk_add_f32 v[124:125], v[126:127], v[124:125]
	v_pk_fma_f32 v[126:127], v[104:105], s[34:35], v[202:203] neg_lo:[0,0,1] neg_hi:[0,0,1]
	v_pk_fma_f32 v[200:201], v[104:105], s[34:35], v[202:203]
	v_pk_mul_f32 v[210:211], v[118:119], s[38:39]
	v_mov_b32_e32 v127, v201
	v_pk_add_f32 v[124:125], v[126:127], v[124:125]
	v_pk_fma_f32 v[126:127], v[106:107], s[46:47], v[210:211] neg_lo:[0,0,1] neg_hi:[0,0,1]
	v_pk_fma_f32 v[208:209], v[106:107], s[46:47], v[210:211]
	s_mov_b32 s56, 0x3e750f2a
	s_mov_b32 s57, s31
	v_mov_b32_e32 v127, v209
	s_mov_b32 s54, s31
	s_mov_b32 s55, s56
	v_pk_mul_f32 v[214:215], v[120:121], s[56:57]
	v_pk_add_f32 v[124:125], v[126:127], v[124:125]
	v_pk_fma_f32 v[126:127], v[108:109], s[54:55], v[214:215] neg_lo:[0,0,1] neg_hi:[0,0,1]
	v_pk_fma_f32 v[212:213], v[108:109], s[54:55], v[214:215]
	s_mov_b32 s48, 0x3f52af12
	s_mov_b32 s49, s41
	v_mov_b32_e32 v127, v213
	s_mov_b32 s38, s41
	s_mov_b32 s39, s48
	v_pk_mul_f32 v[220:221], v[122:123], s[48:49]
	v_pk_add_f32 v[124:125], v[126:127], v[124:125]
	v_pk_fma_f32 v[126:127], v[110:111], s[38:39], v[220:221] neg_lo:[0,0,1] neg_hi:[0,0,1]
	v_pk_fma_f32 v[218:219], v[110:111], s[38:39], v[220:221]
	v_pk_mul_f32 v[222:223], v[112:113], s[26:27]
	v_mov_b32_e32 v127, v219
	v_pk_add_f32 v[126:127], v[126:127], v[124:125]
	v_pk_fma_f32 v[124:125], v[100:101], s[20:21], v[222:223] neg_lo:[0,0,1] neg_hi:[0,0,1]
	v_pk_fma_f32 v[216:217], v[100:101], s[20:21], v[222:223]
	v_pk_mul_f32 v[226:227], v[114:115], s[36:37]
	v_mov_b32_e32 v125, v217
	v_pk_fma_f32 v[228:229], v[102:103], s[28:29], v[226:227] neg_lo:[0,0,1] neg_hi:[0,0,1]
	v_pk_fma_f32 v[224:225], v[102:103], s[28:29], v[226:227]
	v_pk_add_f32 v[124:125], v[56:57], v[124:125]
	v_mov_b32_e32 v229, v225
	v_pk_mul_f32 v[230:231], v[116:117], s[40:41]
	v_pk_add_f32 v[124:125], v[228:229], v[124:125]
	v_pk_fma_f32 v[232:233], v[104:105], s[42:43], v[230:231] neg_lo:[0,0,1] neg_hi:[0,0,1]
	v_pk_fma_f32 v[228:229], v[104:105], s[42:43], v[230:231]
	v_pk_mul_f32 v[234:235], v[118:119], s[56:57]
	v_mov_b32_e32 v233, v229
	v_pk_add_f32 v[124:125], v[232:233], v[124:125]
	v_pk_fma_f32 v[236:237], v[106:107], s[54:55], v[234:235] neg_lo:[0,0,1] neg_hi:[0,0,1]
	v_pk_fma_f32 v[232:233], v[106:107], s[54:55], v[234:235]
	v_pk_mul_f32 v[238:239], v[120:121], s[10:11]
	v_mov_b32_e32 v237, v233
	;; [unrolled: 5-line block ×4, first 2 shown]
	v_pk_add_f32 v[124:125], v[244:245], v[124:125]
	v_pk_fma_f32 v[244:245], v[110:111], s[22:23], v[246:247] neg_lo:[0,0,1] neg_hi:[0,0,1]
	v_pk_fma_f32 v[248:249], v[110:111], s[22:23], v[246:247]
	s_nop 0
	v_mov_b32_e32 v245, v249
	v_pk_add_f32 v[60:61], v[244:245], v[60:61]
	s_barrier
	s_and_saveexec_b64 s[40:41], s[8:9]
	s_cbranch_execz .LBB0_21
; %bb.20:
	v_mov_b32_e32 v177, v86
	v_mov_b32_e32 v183, v87
	v_pk_mul_f32 v[86:87], v[102:103], s[22:23]
	v_pk_add_f32 v[58:59], v[58:59], v[56:57]
	v_accvgpr_write_b32 a58, v86
	v_accvgpr_write_b32 a59, v87
	v_pk_mul_f32 v[86:87], v[104:105], s[52:53]
	v_pk_add_f32 v[58:59], v[62:63], v[58:59]
	v_accvgpr_write_b32 a56, v86
	v_accvgpr_write_b32 a57, v87
	;; [unrolled: 4-line block ×7, first 2 shown]
	v_pk_mul_f32 v[86:87], v[104:105], s[34:35]
	v_accvgpr_write_b32 a20, v92
	v_accvgpr_write_b32 a44, v86
	;; [unrolled: 1-line block ×3, first 2 shown]
	v_pk_mul_f32 v[86:87], v[106:107], s[46:47]
	v_pk_add_f32 v[48:49], v[48:49], v[58:59]
	v_accvgpr_write_b32 a42, v86
	v_accvgpr_write_b32 a43, v87
	v_pk_mul_f32 v[86:87], v[108:109], s[54:55]
	v_accvgpr_write_b32 a21, v93
	v_accvgpr_write_b32 a40, v86
	;; [unrolled: 1-line block ×3, first 2 shown]
	v_pk_mul_f32 v[86:87], v[110:111], s[38:39]
	v_pk_mul_f32 v[92:93], v[102:103], s[42:43]
	v_accvgpr_write_b32 a38, v86
	v_accvgpr_write_b32 a39, v87
	v_pk_mul_f32 v[86:87], v[100:101], s[20:21]
	v_pk_add_f32 v[48:49], v[50:51], v[48:49]
	v_accvgpr_write_b32 a36, v86
	v_pk_mul_f32 v[244:245], v[100:101], s[44:45]
	v_accvgpr_write_b32 a2, v252
	v_mov_b32_e32 v139, v253
	v_pk_mul_f32 v[252:253], v[104:105], s[46:47]
	v_accvgpr_write_b32 a4, v254
	v_accvgpr_write_b32 a37, v87
	v_pk_mul_f32 v[86:87], v[102:103], s[28:29]
	v_pk_add_f32 v[48:49], v[52:53], v[48:49]
	v_pk_add_f32 v[52:53], v[132:133], v[92:93] neg_lo:[0,1] neg_hi:[0,1]
	v_accvgpr_write_b32 a5, v255
	v_pk_mul_f32 v[254:255], v[106:107], s[0:1]
	v_accvgpr_write_b32 a34, v86
	v_pk_add_f32 v[50:51], v[128:129], v[244:245] neg_lo:[0,1] neg_hi:[0,1]
	v_mov_b32_e32 v135, v53
	v_pk_add_f32 v[52:53], v[136:137], v[252:253] neg_lo:[0,1] neg_hi:[0,1]
	v_accvgpr_write_b32 a0, v250
	v_mov_b32_e32 v147, v251
	v_pk_mul_f32 v[250:251], v[108:109], s[20:21]
	v_accvgpr_write_b32 a22, v96
	v_accvgpr_write_b32 a35, v87
	v_pk_mul_f32 v[86:87], v[104:105], s[42:43]
	v_mov_b32_e32 v131, v51
	v_mov_b32_e32 v253, v139
	;; [unrolled: 1-line block ×3, first 2 shown]
	v_pk_add_f32 v[52:53], v[140:141], v[254:255] neg_lo:[0,1] neg_hi:[0,1]
	v_accvgpr_write_b32 a23, v97
	v_pk_mul_f32 v[96:97], v[110:111], s[22:23]
	v_accvgpr_write_b32 a32, v86
	v_pk_add_f32 v[50:51], v[56:57], v[130:131]
	v_mov_b32_e32 v143, v53
	v_pk_add_f32 v[52:53], v[144:145], v[250:251] neg_lo:[0,1] neg_hi:[0,1]
	v_accvgpr_write_b32 a33, v87
	v_pk_mul_f32 v[86:87], v[106:107], s[54:55]
	v_pk_add_f32 v[50:51], v[134:135], v[50:51]
	v_mov_b32_e32 v251, v147
	v_mov_b32_e32 v147, v53
	v_pk_add_f32 v[52:53], v[246:247], v[96:97] neg_lo:[0,1] neg_hi:[0,1]
	v_accvgpr_write_b32 a30, v86
	v_pk_add_f32 v[50:51], v[138:139], v[50:51]
	v_mov_b32_e32 v249, v53
	v_accvgpr_read_b32 v52, a58
	v_accvgpr_write_b32 a31, v87
	v_pk_mul_f32 v[86:87], v[108:109], s[34:35]
	v_pk_add_f32 v[50:51], v[142:143], v[50:51]
	v_accvgpr_read_b32 v53, a59
	v_mov_b32_e32 v75, v79
	v_accvgpr_write_b32 a28, v86
	v_pk_add_f32 v[48:49], v[54:55], v[48:49]
	v_pk_add_f32 v[50:51], v[146:147], v[50:51]
	v_pk_add_f32 v[52:53], v[178:179], v[52:53] neg_lo:[0,1] neg_hi:[0,1]
	v_pk_mul_f32 v[78:79], v[102:103], s[0:1]
	v_accvgpr_write_b32 a29, v87
	v_lshlrev_b32_e32 v75, 3, v75
	v_pk_add_f32 v[48:49], v[94:95], v[48:49]
	v_pk_add_f32 v[50:51], v[248:249], v[50:51]
	v_mov_b32_e32 v86, v177
	v_mov_b32_e32 v177, v53
	v_accvgpr_read_b32 v52, a56
	v_pk_mul_f32 v[76:77], v[104:105], s[22:23]
	v_accvgpr_write_b32 a8, v80
	ds_write2_b64 v75, v[48:49], v[50:51] offset1:1
	v_pk_add_f32 v[50:51], v[154:155], v[78:79] neg_lo:[0,1] neg_hi:[0,1]
	v_accvgpr_read_b32 v53, a57
	v_accvgpr_write_b32 a9, v81
	v_pk_mul_f32 v[80:81], v[106:107], s[50:51]
	v_mov_b32_e32 v153, v51
	v_pk_add_f32 v[50:51], v[158:159], v[76:77] neg_lo:[0,1] neg_hi:[0,1]
	v_pk_add_f32 v[52:53], v[180:181], v[52:53] neg_lo:[0,1] neg_hi:[0,1]
	v_mov_b32_e32 v167, v91
	v_pk_mul_f32 v[90:91], v[108:109], s[28:29]
	v_accvgpr_write_b32 a6, v82
	v_mov_b32_e32 v157, v51
	v_pk_add_f32 v[50:51], v[160:161], v[80:81] neg_lo:[0,1] neg_hi:[0,1]
	v_mov_b32_e32 v87, v183
	v_mov_b32_e32 v183, v53
	v_accvgpr_read_b32 v52, a54
	v_accvgpr_write_b32 a7, v83
	v_pk_mul_f32 v[82:83], v[110:111], s[34:35]
	v_accvgpr_write_b32 a10, v84
	v_mov_b32_e32 v163, v51
	v_pk_add_f32 v[50:51], v[164:165], v[90:91] neg_lo:[0,1] neg_hi:[0,1]
	v_accvgpr_read_b32 v53, a55
	v_pk_mul_f32 v[98:99], v[100:101], s[42:43]
	v_accvgpr_write_b32 a11, v85
	v_pk_mul_f32 v[84:85], v[100:101], s[46:47]
	v_mov_b32_e32 v91, v167
	v_mov_b32_e32 v167, v51
	v_pk_add_f32 v[50:51], v[168:169], v[82:83] neg_lo:[0,1] neg_hi:[0,1]
	v_pk_add_f32 v[52:53], v[190:191], v[52:53] neg_lo:[0,1] neg_hi:[0,1]
	;; [unrolled: 1-line block ×3, first 2 shown]
	v_mov_b32_e32 v173, v51
	v_pk_add_f32 v[50:51], v[174:175], v[84:85] neg_lo:[0,1] neg_hi:[0,1]
	v_mov_b32_e32 v189, v53
	v_accvgpr_read_b32 v52, a52
	v_mov_b32_e32 v149, v49
	v_mov_b32_e32 v171, v51
	v_accvgpr_read_b32 v53, a53
	v_pk_add_f32 v[48:49], v[56:57], v[148:149]
	v_pk_add_f32 v[50:51], v[56:57], v[170:171]
	v_pk_add_f32 v[52:53], v[198:199], v[52:53] neg_lo:[0,1] neg_hi:[0,1]
	v_pk_add_f32 v[48:49], v[152:153], v[48:49]
	v_pk_add_f32 v[50:51], v[176:177], v[50:51]
	v_mov_b32_e32 v197, v53
	v_accvgpr_read_b32 v53, a51
	v_pk_add_f32 v[48:49], v[156:157], v[48:49]
	v_pk_add_f32 v[50:51], v[182:183], v[50:51]
	v_accvgpr_read_b32 v52, a50
	v_pk_add_f32 v[48:49], v[162:163], v[48:49]
	v_pk_add_f32 v[50:51], v[188:189], v[50:51]
	v_pk_add_f32 v[52:53], v[206:207], v[52:53] neg_lo:[0,1] neg_hi:[0,1]
	v_pk_add_f32 v[48:49], v[166:167], v[48:49]
	v_pk_add_f32 v[50:51], v[196:197], v[50:51]
	v_mov_b32_e32 v205, v53
	v_pk_add_f32 v[48:49], v[172:173], v[48:49]
	v_pk_add_f32 v[50:51], v[204:205], v[50:51]
	ds_write2_b64 v75, v[48:49], v[50:51] offset0:2 offset1:3
	v_accvgpr_read_b32 v51, a47
	v_accvgpr_read_b32 v50, a46
	v_pk_add_f32 v[50:51], v[194:195], v[50:51] neg_lo:[0,1] neg_hi:[0,1]
	v_accvgpr_read_b32 v53, a35
	v_mov_b32_e32 v193, v51
	v_accvgpr_read_b32 v51, a45
	v_accvgpr_read_b32 v50, a44
	v_pk_add_f32 v[50:51], v[202:203], v[50:51] neg_lo:[0,1] neg_hi:[0,1]
	v_accvgpr_read_b32 v52, a34
	v_mov_b32_e32 v201, v51
	v_accvgpr_read_b32 v51, a43
	v_accvgpr_read_b32 v50, a42
	v_pk_add_f32 v[50:51], v[210:211], v[50:51] neg_lo:[0,1] neg_hi:[0,1]
	v_pk_add_f32 v[52:53], v[226:227], v[52:53] neg_lo:[0,1] neg_hi:[0,1]
	v_mov_b32_e32 v209, v51
	v_accvgpr_read_b32 v51, a41
	v_accvgpr_read_b32 v50, a40
	v_pk_add_f32 v[50:51], v[214:215], v[50:51] neg_lo:[0,1] neg_hi:[0,1]
	v_mov_b32_e32 v225, v53
	v_accvgpr_read_b32 v53, a33
	v_mov_b32_e32 v213, v51
	v_accvgpr_read_b32 v51, a39
	v_accvgpr_read_b32 v52, a32
	;; [unrolled: 1-line block ×3, first 2 shown]
	v_pk_add_f32 v[52:53], v[230:231], v[52:53] neg_lo:[0,1] neg_hi:[0,1]
	v_pk_add_f32 v[50:51], v[220:221], v[50:51] neg_lo:[0,1] neg_hi:[0,1]
	v_mov_b32_e32 v229, v53
	v_accvgpr_read_b32 v53, a31
	v_accvgpr_read_b32 v48, a48
	v_mov_b32_e32 v219, v51
	v_accvgpr_read_b32 v51, a37
	v_accvgpr_read_b32 v52, a30
	v_accvgpr_write_b32 a26, v88
	v_accvgpr_read_b32 v49, a49
	v_accvgpr_read_b32 v50, a36
	v_pk_add_f32 v[52:53], v[234:235], v[52:53] neg_lo:[0,1] neg_hi:[0,1]
	v_accvgpr_write_b32 a27, v89
	v_pk_mul_f32 v[88:89], v[110:111], s[0:1]
	v_pk_add_f32 v[48:49], v[186:187], v[48:49] neg_lo:[0,1] neg_hi:[0,1]
	v_pk_add_f32 v[50:51], v[222:223], v[50:51] neg_lo:[0,1] neg_hi:[0,1]
	v_mov_b32_e32 v233, v53
	v_accvgpr_read_b32 v53, a29
	v_accvgpr_write_b32 a24, v88
	v_mov_b32_e32 v185, v49
	v_mov_b32_e32 v217, v51
	v_accvgpr_read_b32 v52, a28
	v_accvgpr_write_b32 a25, v89
	v_pk_add_f32 v[48:49], v[56:57], v[184:185]
	v_pk_add_f32 v[50:51], v[56:57], v[216:217]
	v_pk_add_f32 v[52:53], v[238:239], v[52:53] neg_lo:[0,1] neg_hi:[0,1]
	v_pk_add_f32 v[48:49], v[192:193], v[48:49]
	v_pk_add_f32 v[50:51], v[224:225], v[50:51]
	v_mov_b32_e32 v237, v53
	v_accvgpr_read_b32 v53, a25
	v_pk_add_f32 v[48:49], v[200:201], v[48:49]
	v_pk_add_f32 v[50:51], v[228:229], v[50:51]
	v_accvgpr_read_b32 v52, a24
	v_pk_add_f32 v[48:49], v[208:209], v[48:49]
	v_pk_add_f32 v[50:51], v[232:233], v[50:51]
	v_pk_add_f32 v[52:53], v[242:243], v[52:53] neg_lo:[0,1] neg_hi:[0,1]
	v_pk_add_f32 v[48:49], v[212:213], v[48:49]
	v_pk_add_f32 v[50:51], v[236:237], v[50:51]
	v_mov_b32_e32 v241, v53
	v_pk_add_f32 v[48:49], v[218:219], v[48:49]
	v_pk_add_f32 v[50:51], v[240:241], v[50:51]
	ds_write2_b64 v75, v[48:49], v[50:51] offset0:4 offset1:5
	v_pk_mul_f32 v[48:49], v[112:113], s[30:31]
	v_pk_mul_f32 v[50:51], v[114:115], s[10:11]
	v_pk_fma_f32 v[64:65], v[100:101], s[22:23], v[48:49]
	v_pk_fma_f32 v[66:67], v[100:101], s[22:23], v[48:49] neg_lo:[1,0,0] neg_hi:[1,0,0]
	v_pk_fma_f32 v[68:69], v[102:103], s[34:35], v[50:51]
	v_mov_b32_e32 v66, v64
	v_pk_fma_f32 v[70:71], v[102:103], s[34:35], v[50:51] neg_lo:[1,0,0] neg_hi:[1,0,0]
	v_pk_fma_f32 v[48:49], v[100:101], s[22:23], v[48:49] neg_lo:[0,0,1] neg_hi:[0,0,1]
	v_pk_mul_f32 v[52:53], v[116:117], s[26:27]
	v_pk_add_f32 v[66:67], v[56:57], v[66:67]
	v_mov_b32_e32 v70, v68
	v_mov_b32_e32 v49, v65
	v_pk_fma_f32 v[50:51], v[102:103], s[34:35], v[50:51] neg_lo:[0,0,1] neg_hi:[0,0,1]
	v_pk_add_f32 v[66:67], v[70:71], v[66:67]
	v_pk_fma_f32 v[70:71], v[104:105], s[20:21], v[52:53]
	v_pk_fma_f32 v[72:73], v[104:105], s[20:21], v[52:53] neg_lo:[1,0,0] neg_hi:[1,0,0]
	v_pk_add_f32 v[48:49], v[56:57], v[48:49]
	v_mov_b32_e32 v51, v69
	v_pk_mul_f32 v[54:55], v[118:119], s[48:49]
	v_mov_b32_e32 v72, v70
	v_pk_add_f32 v[48:49], v[50:51], v[48:49]
	v_pk_fma_f32 v[50:51], v[104:105], s[20:21], v[52:53] neg_lo:[0,0,1] neg_hi:[0,0,1]
	v_pk_add_f32 v[66:67], v[72:73], v[66:67]
	v_pk_fma_f32 v[72:73], v[106:107], s[38:39], v[54:55]
	v_pk_fma_f32 v[76:77], v[106:107], s[38:39], v[54:55] neg_lo:[1,0,0] neg_hi:[1,0,0]
	v_mov_b32_e32 v51, v71
	v_pk_mul_f32 v[58:59], v[120:121], s[24:25]
	v_mov_b32_e32 v76, v72
	v_pk_add_f32 v[48:49], v[50:51], v[48:49]
	v_pk_fma_f32 v[50:51], v[106:107], s[38:39], v[54:55] neg_lo:[0,0,1] neg_hi:[0,0,1]
	v_pk_add_f32 v[66:67], v[76:77], v[66:67]
	v_pk_fma_f32 v[76:77], v[108:109], s[0:1], v[58:59]
	v_pk_fma_f32 v[78:79], v[108:109], s[0:1], v[58:59] neg_lo:[1,0,0] neg_hi:[1,0,0]
	;; [unrolled: 8-line block ×3, first 2 shown]
	v_mov_b32_e32 v51, v77
	v_mov_b32_e32 v80, v78
	v_pk_add_f32 v[48:49], v[50:51], v[48:49]
	v_pk_fma_f32 v[50:51], v[110:111], s[28:29], v[62:63] neg_lo:[0,0,1] neg_hi:[0,0,1]
	v_accvgpr_read_b32 v89, a27
	v_accvgpr_read_b32 v93, a21
	v_accvgpr_read_b32 v255, a5
	v_accvgpr_read_b32 v97, a23
	v_accvgpr_read_b32 v83, a7
	v_accvgpr_read_b32 v85, a11
	v_pk_add_f32 v[66:67], v[80:81], v[66:67]
	v_accvgpr_read_b32 v81, a9
	v_mov_b32_e32 v51, v79
	v_accvgpr_read_b32 v88, a26
	v_accvgpr_read_b32 v92, a20
	;; [unrolled: 1-line block ×9, first 2 shown]
	v_pk_add_f32 v[48:49], v[50:51], v[48:49]
	ds_write2_b64 v75, v[66:67], v[48:49] offset0:6 offset1:7
	ds_write2_b64 v75, v[124:125], v[126:127] offset0:8 offset1:9
	;; [unrolled: 1-line block ×3, first 2 shown]
	ds_write_b64 v75, v[60:61] offset:96
.LBB0_21:
	s_or_b64 exec, exec, s[40:41]
	v_add_u32_e32 v48, 0x1800, v74
	s_waitcnt lgkmcnt(0)
	s_barrier
	ds_read2_b64 v[66:69], v48 offset0:51 offset1:233
	v_add_u32_e32 v48, 0xa00, v74
	ds_read2_b64 v[50:53], v48 offset0:44 offset1:226
	v_add_u32_e32 v48, 0x2400, v74
	ds_read2_b64 v[62:65], v74 offset1:182
	ds_read2_b64 v[54:57], v48 offset0:31 offset1:213
	v_mov_b32_e32 v108, v88
	v_mov_b32_e32 v109, v88
	;; [unrolled: 1-line block ×12, first 2 shown]
	s_and_saveexec_b64 s[0:1], s[4:5]
	s_cbranch_execz .LBB0_23
; %bb.22:
	ds_read_b64 v[124:125], v74 offset:5824
	ds_read_b64 v[126:127], v74 offset:12376
.LBB0_23:
	s_or_b64 exec, exec, s[0:1]
	s_waitcnt lgkmcnt(0)
	v_pk_mul_f32 v[48:49], v[254:255], v[126:127] op_sel:[0,1]
	v_pk_mul_f32 v[78:79], v[84:85], v[68:69]
	v_pk_fma_f32 v[84:85], v[254:255], v[126:127], v[48:49] op_sel:[0,0,1] op_sel_hi:[1,1,0]
	v_pk_fma_f32 v[48:49], v[254:255], v[126:127], v[48:49] op_sel:[0,0,1] op_sel_hi:[1,0,0] neg_lo:[1,0,0] neg_hi:[1,0,0]
	v_pk_mul_f32 v[76:77], v[88:89], v[66:67]
	v_mov_b32_e32 v85, v49
	v_pk_add_f32 v[48:49], v[124:125], v[84:85] neg_lo:[0,1] neg_hi:[0,1]
	v_pk_fma_f32 v[84:85], v[108:109], v[66:67], v[76:77] op_sel:[0,0,1] op_sel_hi:[1,1,0]
	v_pk_fma_f32 v[66:67], v[108:109], v[66:67], v[76:77] op_sel:[0,0,1] op_sel_hi:[1,1,0] neg_lo:[0,0,1] neg_hi:[0,0,1]
	s_nop 0
	v_mov_b32_e32 v85, v67
	v_pk_add_f32 v[66:67], v[62:63], v[84:85] neg_lo:[0,1] neg_hi:[0,1]
	s_barrier
	v_pk_fma_f32 v[62:63], v[62:63], 2.0, v[66:67] op_sel_hi:[1,0,1] neg_lo:[0,0,1] neg_hi:[0,0,1]
	ds_write2_b64 v251, v[62:63], v[66:67] offset1:13
	v_pk_fma_f32 v[62:63], v[106:107], v[68:69], v[78:79] op_sel:[0,0,1] op_sel_hi:[1,1,0]
	v_pk_fma_f32 v[66:67], v[106:107], v[68:69], v[78:79] op_sel:[0,0,1] op_sel_hi:[1,1,0] neg_lo:[0,0,1] neg_hi:[0,0,1]
	v_pk_mul_f32 v[80:81], v[80:81], v[54:55]
	v_mov_b32_e32 v63, v67
	v_pk_add_f32 v[62:63], v[64:65], v[62:63] neg_lo:[0,1] neg_hi:[0,1]
	v_accvgpr_read_b32 v66, a3
	v_pk_fma_f32 v[64:65], v[64:65], 2.0, v[62:63] op_sel_hi:[1,0,1] neg_lo:[0,0,1] neg_hi:[0,0,1]
	ds_write2_b64 v66, v[64:65], v[62:63] offset1:13
	v_pk_fma_f32 v[62:63], v[104:105], v[54:55], v[80:81] op_sel:[0,0,1] op_sel_hi:[1,1,0]
	v_pk_fma_f32 v[54:55], v[104:105], v[54:55], v[80:81] op_sel:[0,0,1] op_sel_hi:[1,1,0] neg_lo:[0,0,1] neg_hi:[0,0,1]
	v_pk_mul_f32 v[82:83], v[82:83], v[56:57]
	v_mov_b32_e32 v63, v55
	v_pk_add_f32 v[54:55], v[50:51], v[62:63] neg_lo:[0,1] neg_hi:[0,1]
	v_accvgpr_read_b32 v62, a1
	v_pk_fma_f32 v[50:51], v[50:51], 2.0, v[54:55] op_sel_hi:[1,0,1] neg_lo:[0,0,1] neg_hi:[0,0,1]
	ds_write2_b64 v62, v[50:51], v[54:55] offset1:13
	v_pk_fma_f32 v[50:51], v[110:111], v[56:57], v[82:83] op_sel:[0,0,1] op_sel_hi:[1,1,0]
	v_pk_fma_f32 v[54:55], v[110:111], v[56:57], v[82:83] op_sel:[0,0,1] op_sel_hi:[1,1,0] neg_lo:[0,0,1] neg_hi:[0,0,1]
	v_mov_b32_e32 v102, v20
	v_mov_b32_e32 v51, v55
	v_pk_add_f32 v[50:51], v[52:53], v[50:51] neg_lo:[0,1] neg_hi:[0,1]
	v_mov_b32_e32 v103, v20
	v_mov_b32_e32 v20, v21
	v_mov_b32_e32 v100, v22
	v_mov_b32_e32 v101, v22
	v_mov_b32_e32 v22, v23
	v_mov_b32_e32 v94, v16
	v_mov_b32_e32 v95, v16
	v_mov_b32_e32 v16, v17
	v_mov_b32_e32 v72, v18
	v_mov_b32_e32 v73, v18
	v_mov_b32_e32 v18, v19
	v_mov_b32_e32 v70, v12
	v_mov_b32_e32 v71, v12
	v_mov_b32_e32 v12, v13
	v_mov_b32_e32 v58, v14
	v_mov_b32_e32 v59, v14
	v_mov_b32_e32 v14, v15
	v_pk_fma_f32 v[52:53], v[52:53], 2.0, v[50:51] op_sel_hi:[1,0,1] neg_lo:[0,0,1] neg_hi:[0,0,1]
	ds_write2_b64 v253, v[52:53], v[50:51] offset1:13
	s_and_saveexec_b64 s[0:1], s[4:5]
	s_cbranch_execz .LBB0_25
; %bb.24:
	v_mad_legacy_u16 v50, v86, 26, v87
	v_lshlrev_b32_e32 v52, 3, v50
	v_pk_fma_f32 v[50:51], v[124:125], 2.0, v[48:49] op_sel_hi:[1,0,1] neg_lo:[0,0,1] neg_hi:[0,0,1]
	ds_write2_b64 v52, v[50:51], v[48:49] offset1:13
.LBB0_25:
	s_or_b64 exec, exec, s[0:1]
	v_add_u32_e32 v50, 0x1600, v74
	s_waitcnt lgkmcnt(0)
	s_barrier
	ds_read2_b64 v[50:53], v50 offset0:24 offset1:206
	ds_read_b64 v[62:63], v74 offset:11648
	v_add_u32_e32 v54, 0xa00, v74
	ds_read2_b64 v[54:57], v54 offset0:44 offset1:226
	s_mov_b32 s0, 0x3f5db3d7
	s_waitcnt lgkmcnt(2)
	v_pk_mul_f32 v[20:21], v[20:21], v[52:53]
	v_pk_mul_f32 v[16:17], v[16:17], v[50:51]
	v_pk_fma_f32 v[76:77], v[102:103], v[52:53], v[20:21] op_sel:[0,0,1] op_sel_hi:[1,1,0]
	v_pk_fma_f32 v[20:21], v[102:103], v[52:53], v[20:21] op_sel:[0,0,1] op_sel_hi:[1,1,0] neg_lo:[0,0,1] neg_hi:[0,0,1]
	v_pk_fma_f32 v[80:81], v[94:95], v[50:51], v[16:17] op_sel:[0,0,1] op_sel_hi:[1,1,0]
	v_mov_b32_e32 v77, v21
	s_waitcnt lgkmcnt(1)
	v_pk_mul_f32 v[20:21], v[22:23], v[62:63]
	v_pk_fma_f32 v[16:17], v[94:95], v[50:51], v[16:17] op_sel:[0,0,1] op_sel_hi:[1,1,0] neg_lo:[0,0,1] neg_hi:[0,0,1]
	v_pk_fma_f32 v[52:53], v[100:101], v[62:63], v[20:21] op_sel:[0,0,1] op_sel_hi:[1,1,0]
	v_pk_fma_f32 v[20:21], v[100:101], v[62:63], v[20:21] op_sel:[0,0,1] op_sel_hi:[1,1,0] neg_lo:[0,0,1] neg_hi:[0,0,1]
	ds_read2_b64 v[62:65], v74 offset1:182
	v_mov_b32_e32 v53, v21
	v_pk_add_f32 v[20:21], v[76:77], v[52:53]
	v_pk_add_f32 v[22:23], v[76:77], v[52:53] neg_lo:[0,1] neg_hi:[0,1]
	s_waitcnt lgkmcnt(1)
	v_pk_fma_f32 v[20:21], v[20:21], 0.5, v[54:55] op_sel_hi:[1,0,1] neg_lo:[1,0,0] neg_hi:[1,0,0]
	v_pk_mul_f32 v[22:23], v[22:23], s[0:1] op_sel_hi:[1,0]
	v_mov_b32_e32 v81, v17
	v_pk_add_f32 v[78:79], v[20:21], v[22:23] op_sel:[0,1] op_sel_hi:[1,0] neg_lo:[0,1] neg_hi:[0,1]
	v_pk_add_f32 v[22:23], v[20:21], v[22:23] op_sel:[0,1] op_sel_hi:[1,0]
	v_pk_mul_f32 v[12:13], v[12:13], v[56:57]
	v_mov_b32_e32 v21, v23
	v_add_u32_e32 v23, 0x2000, v74
	ds_read2_b64 v[66:69], v23 offset0:68 offset1:250
	v_accvgpr_read_b32 v23, a14
	s_waitcnt lgkmcnt(0)
	s_barrier
	v_pk_mul_f32 v[16:17], v[18:19], v[68:69]
	v_mov_b32_e32 v20, v78
	v_pk_fma_f32 v[18:19], v[72:73], v[68:69], v[16:17] op_sel:[0,0,1] op_sel_hi:[1,1,0]
	v_pk_fma_f32 v[16:17], v[72:73], v[68:69], v[16:17] op_sel:[0,0,1] op_sel_hi:[1,1,0] neg_lo:[0,0,1] neg_hi:[0,0,1]
	s_nop 0
	v_mov_b32_e32 v19, v17
	v_pk_add_f32 v[16:17], v[80:81], v[18:19]
	v_pk_add_f32 v[50:51], v[80:81], v[18:19] neg_lo:[0,1] neg_hi:[0,1]
	v_pk_fma_f32 v[16:17], v[16:17], 0.5, v[64:65] op_sel_hi:[1,0,1] neg_lo:[1,0,0] neg_hi:[1,0,0]
	v_pk_mul_f32 v[50:51], v[50:51], s[0:1] op_sel_hi:[1,0]
	s_nop 0
	v_pk_add_f32 v[68:69], v[16:17], v[50:51] op_sel:[0,1] op_sel_hi:[1,0]
	v_pk_add_f32 v[16:17], v[16:17], v[50:51] op_sel:[0,1] op_sel_hi:[1,0] neg_lo:[0,1] neg_hi:[0,1]
	v_pk_fma_f32 v[50:51], v[70:71], v[56:57], v[12:13] op_sel:[0,0,1] op_sel_hi:[1,1,0]
	v_pk_fma_f32 v[12:13], v[70:71], v[56:57], v[12:13] op_sel:[0,0,1] op_sel_hi:[1,1,0] neg_lo:[0,0,1] neg_hi:[0,0,1]
                                        ; implicit-def: $vgpr70_vgpr71
	s_nop 0
	v_mov_b32_e32 v51, v13
	v_pk_mul_f32 v[12:13], v[14:15], v[66:67]
	s_nop 0
	v_pk_fma_f32 v[14:15], v[58:59], v[66:67], v[12:13] op_sel:[0,0,1] op_sel_hi:[1,1,0]
	v_pk_fma_f32 v[12:13], v[58:59], v[66:67], v[12:13] op_sel:[0,0,1] op_sel_hi:[1,1,0] neg_lo:[0,0,1] neg_hi:[0,0,1]
                                        ; implicit-def: $vgpr66_vgpr67
	s_nop 0
	v_mov_b32_e32 v15, v13
	v_pk_add_f32 v[12:13], v[62:63], v[50:51]
	v_pk_add_f32 v[56:57], v[50:51], v[14:15]
	;; [unrolled: 1-line block ×3, first 2 shown]
	v_pk_add_f32 v[14:15], v[50:51], v[14:15] neg_lo:[0,1] neg_hi:[0,1]
	v_pk_fma_f32 v[56:57], v[56:57], 0.5, v[62:63] op_sel_hi:[1,0,1] neg_lo:[1,0,0] neg_hi:[1,0,0]
	v_pk_mul_f32 v[14:15], v[14:15], s[0:1] op_sel_hi:[1,0]
	s_nop 0
	v_pk_add_f32 v[50:51], v[56:57], v[14:15] op_sel:[0,1] op_sel_hi:[1,0] neg_lo:[0,1] neg_hi:[0,1]
	v_pk_add_f32 v[14:15], v[56:57], v[14:15] op_sel:[0,1] op_sel_hi:[1,0]
	v_mov_b32_e32 v56, v50
	v_mov_b32_e32 v57, v15
	ds_write2_b64 v23, v[12:13], v[56:57] offset1:26
	v_mov_b32_e32 v15, v51
	v_pk_add_f32 v[12:13], v[64:65], v[80:81]
	ds_write_b64 v23, v[14:15] offset:416
	v_pk_add_f32 v[12:13], v[12:13], v[18:19]
	v_mov_b32_e32 v14, v16
	v_mov_b32_e32 v15, v69
	v_accvgpr_read_b32 v16, a13
	ds_write2_b64 v16, v[12:13], v[14:15] offset1:26
	v_mov_b32_e32 v69, v17
	v_pk_add_f32 v[12:13], v[54:55], v[76:77]
	ds_write_b64 v16, v[68:69] offset:416
	v_pk_add_f32 v[12:13], v[12:13], v[52:53]
	v_accvgpr_read_b32 v14, a12
	v_mov_b32_e32 v23, v79
	v_add_u32_e32 v16, 0xe00, v74
	ds_write2_b64 v14, v[12:13], v[20:21] offset1:26
	ds_write_b64 v14, v[22:23] offset:416
	s_waitcnt lgkmcnt(0)
	s_barrier
	ds_read2_b64 v[52:55], v16 offset0:20 offset1:254
	v_add_u32_e32 v16, 0x1d00, v74
	ds_read2_b64 v[12:15], v74 offset1:234
	ds_read2_b64 v[16:19], v16 offset0:8 offset1:242
	ds_read_b64 v[72:73], v74 offset:11232
                                        ; implicit-def: $vgpr68_vgpr69
	s_and_saveexec_b64 s[0:1], s[6:7]
	s_xor_b64 s[0:1], exec, s[0:1]
; %bb.26:
	v_accvgpr_write_b32 a17, v97
	v_mov_b32_e32 v68, v91
	v_mov_b32_e32 v69, v96
	v_mov_b32_e32 v66, v22
	v_mov_b32_e32 v67, v93
	v_mov_b32_e32 v70, v23
	v_mov_b32_e32 v71, v92
; %bb.27:
	s_andn2_saveexec_b64 s[0:1], s[0:1]
	s_cbranch_execz .LBB0_29
; %bb.28:
	v_add_u32_e32 v20, 0x580, v74
	v_add_u32_e32 v21, 0x1400, v74
	;; [unrolled: 1-line block ×3, first 2 shown]
	ds_read_b64 v[56:57], v74 offset:12688
	ds_read2_b64 v[48:51], v21 offset0:10 offset1:244
	ds_read2_b64 v[20:23], v20 offset0:6 offset1:240
	;; [unrolled: 1-line block ×3, first 2 shown]
	s_waitcnt lgkmcnt(3)
	v_mov_b32_e32 v62, v56
	s_waitcnt lgkmcnt(2)
	v_mov_b32_e32 v63, v51
	v_accvgpr_write_b32 a16, v62
	v_accvgpr_write_b32 a17, v63
	v_mov_b32_e32 v68, v57
	v_mov_b32_e32 v69, v50
	s_waitcnt lgkmcnt(1)
	v_mov_b32_e32 v66, v22
	s_waitcnt lgkmcnt(0)
	v_mov_b32_e32 v67, v59
	v_mov_b32_e32 v70, v23
	;; [unrolled: 1-line block ×3, first 2 shown]
.LBB0_29:
	s_or_b64 exec, exec, s[0:1]
	s_waitcnt lgkmcnt(3)
	v_pk_mul_f32 v[88:89], v[32:33], v[54:55] op_sel:[0,1] op_sel_hi:[1,0]
	s_waitcnt lgkmcnt(2)
	v_pk_mul_f32 v[76:77], v[28:29], v[14:15] op_sel_hi:[1,0]
	v_mov_b32_e32 v78, v15
	v_mov_b32_e32 v88, v89
	s_waitcnt lgkmcnt(1)
	v_pk_mul_f32 v[90:91], v[34:35], v[16:17] op_sel:[0,1] op_sel_hi:[1,0]
	v_pk_mul_f32 v[80:81], v[30:31], v[52:53] op_sel_hi:[1,0]
	v_mov_b32_e32 v82, v53
	v_pk_mul_f32 v[84:85], v[32:33], v[54:55]
	v_mov_b32_e32 v86, v33
	v_pk_fma_f32 v[32:33], v[32:33], v[54:55], v[88:89] op_sel:[0,1,0] op_sel_hi:[1,0,1] neg_lo:[0,0,1] neg_hi:[0,0,1]
	v_mov_b32_e32 v88, v35
	v_mov_b32_e32 v90, v91
	v_pk_fma_f32 v[78:79], v[28:29], v[78:79], v[76:77] op_sel:[0,0,1] op_sel_hi:[1,1,0] neg_lo:[0,0,1] neg_hi:[0,0,1]
	v_pk_fma_f32 v[14:15], v[28:29], v[14:15], v[76:77] op_sel:[0,1,1] op_sel_hi:[1,1,0]
	v_pk_mul_f32 v[86:87], v[86:87], v[54:55] op_sel:[0,1] op_sel_hi:[1,0]
	v_pk_mul_f32 v[54:55], v[34:35], v[16:17]
	v_pk_mul_f32 v[88:89], v[88:89], v[16:17] op_sel:[0,1] op_sel_hi:[1,0]
	v_pk_fma_f32 v[16:17], v[34:35], v[16:17], v[90:91] op_sel:[0,1,0] op_sel_hi:[1,0,1] neg_lo:[0,0,1] neg_hi:[0,0,1]
	v_pk_mul_f32 v[34:35], v[24:25], v[18:19] op_sel_hi:[1,0]
	v_mov_b32_e32 v90, v19
	v_mov_b32_e32 v79, v15
	v_pk_fma_f32 v[14:15], v[30:31], v[82:83], v[80:81] op_sel:[0,0,1] op_sel_hi:[1,1,0] neg_lo:[0,0,1] neg_hi:[0,0,1]
	v_pk_fma_f32 v[28:29], v[30:31], v[52:53], v[80:81] op_sel:[0,1,1] op_sel_hi:[1,1,0]
	s_waitcnt lgkmcnt(0)
	v_pk_mul_f32 v[92:93], v[26:27], v[72:73] op_sel_hi:[1,0]
	v_mov_b32_e32 v94, v73
	v_mov_b32_e32 v15, v29
	v_pk_fma_f32 v[28:29], v[24:25], v[90:91], v[34:35] op_sel:[0,0,1] op_sel_hi:[1,1,0] neg_lo:[0,0,1] neg_hi:[0,0,1]
	v_pk_fma_f32 v[18:19], v[24:25], v[18:19], v[34:35] op_sel:[0,1,1] op_sel_hi:[1,1,0]
	v_pk_fma_f32 v[24:25], v[26:27], v[72:73], v[92:93] op_sel:[0,1,1] op_sel_hi:[1,1,0]
	v_mov_b32_e32 v29, v19
	v_pk_fma_f32 v[18:19], v[26:27], v[94:95], v[92:93] op_sel:[0,0,1] op_sel_hi:[1,1,0] neg_lo:[0,0,1] neg_hi:[0,0,1]
	v_mov_b32_e32 v55, v78
	v_mov_b32_e32 v19, v25
	;; [unrolled: 1-line block ×5, first 2 shown]
	v_pk_add_f32 v[24:25], v[78:79], v[18:19]
	v_pk_add_f32 v[26:27], v[78:79], v[18:19] neg_lo:[0,1] neg_hi:[0,1]
	v_pk_add_f32 v[30:31], v[14:15], v[28:29]
	v_pk_add_f32 v[34:35], v[14:15], v[28:29] neg_lo:[0,1] neg_hi:[0,1]
	v_pk_add_f32 v[18:19], v[54:55], v[88:89]
	v_pk_add_f32 v[14:15], v[84:85], v[86:87]
	v_mov_b32_e32 v17, v18
	v_mov_b32_e32 v33, v14
	v_pk_add_f32 v[28:29], v[16:17], v[32:33] neg_lo:[0,1] neg_hi:[0,1]
	v_mov_b32_e32 v76, v31
	v_mov_b32_e32 v77, v32
	;; [unrolled: 1-line block ×4, first 2 shown]
	v_pk_add_f32 v[16:17], v[76:77], v[32:33]
	v_pk_add_f32 v[32:33], v[14:15], v[18:19]
	v_mov_b32_e32 v52, v28
	v_mov_b32_e32 v53, v27
	;; [unrolled: 1-line block ×4, first 2 shown]
	s_mov_b32 s4, 0x3f08b237
	v_mov_b32_e32 v18, v32
	v_mov_b32_e32 v77, v17
	s_mov_b32 s26, 0x3d64c772
	v_pk_add_f32 v[52:53], v[52:53], v[54:55] neg_lo:[0,1] neg_hi:[0,1]
	s_mov_b32 s5, 0xbeae86e6
	v_mov_b32_e32 v54, v26
	v_mov_b32_e32 v72, v28
	;; [unrolled: 1-line block ×3, first 2 shown]
	v_pk_add_f32 v[76:77], v[18:19], v[76:77] neg_lo:[0,1] neg_hi:[0,1]
	v_mov_b32_e32 v78, v25
	v_mov_b32_e32 v79, v17
	;; [unrolled: 1-line block ×3, first 2 shown]
	v_pk_add_f32 v[16:17], v[16:17], v[32:33]
	s_mov_b32 s27, 0x3f4a47b2
	v_pk_mul_f32 v[52:53], v[52:53], s[4:5]
	v_pk_add_f32 v[54:55], v[54:55], v[72:73] neg_lo:[0,1] neg_hi:[0,1]
	s_mov_b32 s6, s5
	s_mov_b32 s7, s4
	v_pk_add_f32 v[28:29], v[28:29], v[34:35]
	v_pk_add_f32 v[78:79], v[78:79], v[14:15] neg_lo:[0,1] neg_hi:[0,1]
	v_pk_add_f32 v[12:13], v[12:13], v[16:17]
	s_mov_b32 s24, 0xbf955555
	v_pk_mul_f32 v[32:33], v[76:77], s[26:27]
	s_mov_b32 s28, s27
	s_mov_b32 s29, s26
	v_pk_mul_f32 v[72:73], v[54:55], s[6:7]
	v_pk_add_f32 v[28:29], v[28:29], v[26:27]
	s_mov_b32 s0, 0xbee1c552
	v_pk_mul_f32 v[76:77], v[78:79], s[28:29]
	v_pk_fma_f32 v[16:17], v[16:17], s[24:25], v[12:13] op_sel_hi:[1,0,1]
	v_pk_fma_f32 v[78:79], v[78:79], s[28:29], v[32:33]
	v_pk_fma_f32 v[54:55], v[54:55], s[6:7], v[52:53]
	v_pk_add_f32 v[78:79], v[78:79], v[16:17]
	v_pk_fma_f32 v[54:55], v[28:29], s[0:1], v[54:55] op_sel_hi:[1,0,1]
	v_accvgpr_read_b32 v30, a18
	v_pk_add_f32 v[80:81], v[78:79], v[54:55]
	v_pk_add_f32 v[54:55], v[78:79], v[54:55] neg_lo:[0,1] neg_hi:[0,1]
	v_mov_b32_e32 v78, v80
	v_mov_b32_e32 v79, v55
	v_mov_b32_e32 v14, v31
	v_mov_b32_e32 v18, v25
	s_barrier
	ds_write2_b64 v30, v[12:13], v[78:79] offset1:78
	v_pk_add_f32 v[12:13], v[34:35], v[26:27] neg_lo:[0,1] neg_hi:[0,1]
	s_mov_b32 s10, 0xbf5ff5aa
	v_pk_add_f32 v[14:15], v[14:15], v[18:19] neg_lo:[0,1] neg_hi:[0,1]
	s_mov_b32 s20, 0x3f3bfb3b
	v_mov_b32_e32 v18, v76
	v_mov_b32_e32 v19, v33
	;; [unrolled: 1-line block ×6, first 2 shown]
	v_pk_fma_f32 v[18:19], v[14:15], s[20:21], v[18:19] op_sel_hi:[1,0,1] neg_lo:[1,0,1] neg_hi:[1,0,1]
	v_pk_fma_f32 v[24:25], v[12:13], s[10:11], v[24:25] op_sel_hi:[1,0,1] neg_lo:[1,0,1] neg_hi:[1,0,1]
	;; [unrolled: 1-line block ×4, first 2 shown]
	v_pk_add_f32 v[18:19], v[18:19], v[16:17]
	v_pk_fma_f32 v[24:25], v[28:29], s[0:1], v[24:25] op_sel_hi:[1,0,1]
	v_pk_add_f32 v[14:15], v[14:15], v[16:17]
	v_pk_fma_f32 v[12:13], v[28:29], s[0:1], v[12:13] op_sel_hi:[1,0,1]
	v_pk_add_f32 v[26:27], v[18:19], v[24:25]
	v_pk_add_f32 v[18:19], v[18:19], v[24:25] neg_lo:[0,1] neg_hi:[0,1]
	v_pk_add_f32 v[16:17], v[14:15], v[12:13] neg_lo:[0,1] neg_hi:[0,1]
	v_pk_add_f32 v[12:13], v[14:15], v[12:13]
	v_mov_b32_e32 v24, v26
	v_mov_b32_e32 v25, v19
	;; [unrolled: 1-line block ×22, first 2 shown]
	ds_write2_b64 v30, v[24:25], v[14:15] offset0:156 offset1:234
	v_mov_b32_e32 v13, v17
	v_mov_b32_e32 v19, v27
	v_add_u32_e32 v14, 0x800, v30
	v_mov_b32_e32 v55, v81
	ds_write2_b64 v14, v[12:13], v[18:19] offset0:56 offset1:134
	ds_write_b64 v30, v[54:55] offset:3744
	s_and_saveexec_b64 s[22:23], s[2:3]
	s_cbranch_execz .LBB0_31
; %bb.30:
	v_mov_b32_e32 v34, v3
	v_mov_b32_e32 v35, v11
	;; [unrolled: 1-line block ×5, first 2 shown]
	v_pk_mul_f32 v[34:35], v[34:35], v[52:53]
	v_mov_b32_e32 v53, v4
	v_mov_b32_e32 v77, v5
	v_accvgpr_read_b32 v81, a17
	v_pk_mul_f32 v[10:11], v[10:11], v[48:49]
	v_pk_mul_f32 v[4:5], v[4:5], v[60:61]
	v_mov_b32_e32 v24, v7
	v_mov_b32_e32 v33, v49
	v_accvgpr_read_b32 v80, a16
	v_mov_b32_e32 v48, v4
	v_mov_b32_e32 v49, v10
	;; [unrolled: 1-line block ×11, first 2 shown]
	v_pk_add_f32 v[4:5], v[48:49], v[10:11]
	v_pk_mul_f32 v[10:11], v[24:25], v[80:81]
	v_mov_b32_e32 v12, v8
	v_mov_b32_e32 v13, v2
	v_pk_mul_f32 v[16:17], v[16:17], v[70:71]
	v_mov_b32_e32 v18, v6
	v_mov_b32_e32 v19, v0
	;; [unrolled: 3-line block ×3, first 2 shown]
	v_mov_b32_e32 v32, v71
	v_mov_b32_e32 v52, v0
	;; [unrolled: 1-line block ×5, first 2 shown]
	v_pk_mul_f32 v[76:77], v[76:77], v[78:79]
	v_pk_fma_f32 v[6:7], v[6:7], v[68:69], v[10:11] neg_lo:[0,0,1] neg_hi:[0,0,1]
	v_pk_mul_f32 v[10:11], v[14:15], v[66:67]
	v_pk_fma_f32 v[24:25], v[18:19], v[80:81], v[26:27]
	v_pk_fma_f32 v[8:9], v[8:9], v[70:71], v[10:11] neg_lo:[0,0,1] neg_hi:[0,0,1]
	v_pk_fma_f32 v[18:19], v[18:19], v[80:81], v[26:27] neg_lo:[0,0,1] neg_hi:[0,0,1]
	v_pk_fma_f32 v[26:27], v[12:13], v[66:67], v[16:17]
	v_pk_fma_f32 v[12:13], v[12:13], v[66:67], v[16:17] neg_lo:[0,0,1] neg_hi:[0,0,1]
	v_pk_fma_f32 v[0:1], v[0:1], v[54:55], v[76:77]
	v_pk_fma_f32 v[16:17], v[52:53], v[72:73], v[76:77] neg_lo:[0,0,1] neg_hi:[0,0,1]
	v_pk_fma_f32 v[2:3], v[2:3], v[30:31], v[34:35]
	v_pk_fma_f32 v[28:29], v[28:29], v[32:33], v[34:35] neg_lo:[0,0,1] neg_hi:[0,0,1]
	v_pk_add_f32 v[10:11], v[6:7], v[8:9]
	v_mov_b32_e32 v14, v5
	v_mov_b32_e32 v25, v19
	;; [unrolled: 1-line block ×7, first 2 shown]
	v_pk_add_f32 v[14:15], v[4:5], v[14:15]
	v_pk_add_f32 v[30:31], v[24:25], v[26:27]
	;; [unrolled: 1-line block ×3, first 2 shown]
	v_pk_add_f32 v[6:7], v[8:9], v[6:7] neg_lo:[0,1] neg_hi:[0,1]
	v_mov_b32_e32 v8, v13
	v_mov_b32_e32 v9, v2
	;; [unrolled: 1-line block ×7, first 2 shown]
	v_pk_add_f32 v[0:1], v[8:9], v[2:3] neg_lo:[0,1] neg_hi:[0,1]
	v_mov_b32_e32 v2, v29
	v_mov_b32_e32 v3, v5
	;; [unrolled: 1-line block ×4, first 2 shown]
	v_pk_add_f32 v[52:53], v[52:53], v[14:15] neg_lo:[0,1] neg_hi:[0,1]
	v_mov_b32_e32 v15, v33
	v_mov_b32_e32 v54, v30
	;; [unrolled: 1-line block ×3, first 2 shown]
	v_pk_add_f32 v[2:3], v[2:3], v[8:9] neg_lo:[0,1] neg_hi:[0,1]
	v_pk_add_f32 v[34:35], v[30:31], v[32:33] neg_lo:[0,1] neg_hi:[0,1]
	v_pk_add_f32 v[10:11], v[14:15], v[54:55]
	v_mov_b32_e32 v33, v31
	v_mov_b32_e32 v12, v0
	;; [unrolled: 1-line block ×5, first 2 shown]
	v_pk_add_f32 v[10:11], v[32:33], v[10:11]
	v_mov_b32_e32 v4, v6
	v_mov_b32_e32 v5, v1
	;; [unrolled: 1-line block ×4, first 2 shown]
	v_pk_add_f32 v[12:13], v[12:13], v[16:17] neg_lo:[0,1] neg_hi:[0,1]
	v_pk_mul_f32 v[52:53], v[52:53], s[26:27]
	v_pk_add_f32 v[20:21], v[20:21], v[10:11]
	v_pk_add_f32 v[4:5], v[4:5], v[8:9] neg_lo:[0,1] neg_hi:[0,1]
	v_pk_mul_f32 v[12:13], v[12:13], s[4:5]
	v_pk_add_f32 v[0:1], v[0:1], v[2:3]
	v_pk_mul_f32 v[48:49], v[34:35], s[28:29]
	v_pk_fma_f32 v[34:35], v[34:35], s[28:29], v[52:53]
	v_pk_fma_f32 v[10:11], v[10:11], s[24:25], v[20:21] op_sel_hi:[1,0,1]
	v_pk_mul_f32 v[8:9], v[4:5], s[6:7]
	v_pk_fma_f32 v[4:5], v[4:5], s[6:7], v[12:13]
	v_pk_add_f32 v[0:1], v[0:1], v[6:7]
	v_pk_add_f32 v[30:31], v[34:35], v[10:11]
	v_pk_fma_f32 v[4:5], v[0:1], s[0:1], v[4:5] op_sel_hi:[1,0,1]
	v_accvgpr_read_b32 v24, a15
	v_pk_add_f32 v[16:17], v[30:31], v[4:5] neg_lo:[0,1] neg_hi:[0,1]
	v_pk_add_f32 v[4:5], v[30:31], v[4:5]
	v_mov_b32_e32 v19, v17
	v_mov_b32_e32 v18, v4
	v_add_u32_e32 v4, 0x2000, v24
	v_pk_add_f32 v[2:3], v[2:3], v[6:7] neg_lo:[0,1] neg_hi:[0,1]
	v_mov_b32_e32 v6, v8
	v_mov_b32_e32 v7, v13
	;; [unrolled: 1-line block ×3, first 2 shown]
	ds_write2_b64 v4, v[20:21], v[18:19] offset0:68 offset1:146
	v_mov_b32_e32 v18, v48
	v_mov_b32_e32 v19, v53
	v_pk_add_f32 v[14:15], v[14:15], v[54:55] neg_lo:[0,1] neg_hi:[0,1]
	v_pk_fma_f32 v[6:7], v[2:3], s[10:11], v[6:7] op_sel_hi:[1,0,1] neg_lo:[1,0,1] neg_hi:[1,0,1]
	v_pk_fma_f32 v[2:3], v[2:3], s[10:11], v[12:13] op_sel_hi:[1,0,1] neg_lo:[0,0,1] neg_hi:[0,0,1]
	v_mov_b32_e32 v53, v49
	v_pk_fma_f32 v[18:19], v[14:15], s[20:21], v[18:19] op_sel_hi:[1,0,1] neg_lo:[1,0,1] neg_hi:[1,0,1]
	v_pk_fma_f32 v[6:7], v[0:1], s[0:1], v[6:7] op_sel_hi:[1,0,1]
	v_pk_fma_f32 v[0:1], v[0:1], s[0:1], v[2:3] op_sel_hi:[1,0,1]
	v_pk_fma_f32 v[2:3], v[14:15], s[20:21], v[52:53] op_sel_hi:[1,0,1] neg_lo:[0,0,1] neg_hi:[0,0,1]
	v_pk_add_f32 v[18:19], v[18:19], v[10:11]
	v_pk_add_f32 v[2:3], v[2:3], v[10:11]
	v_pk_add_f32 v[20:21], v[18:19], v[6:7] neg_lo:[0,1] neg_hi:[0,1]
	v_pk_add_f32 v[6:7], v[18:19], v[6:7]
	v_pk_add_f32 v[8:9], v[2:3], v[0:1]
	v_pk_add_f32 v[0:1], v[2:3], v[0:1] neg_lo:[0,1] neg_hi:[0,1]
	v_mov_b32_e32 v18, v6
	v_mov_b32_e32 v19, v21
	;; [unrolled: 1-line block ×4, first 2 shown]
	v_add_u32_e32 v0, 0x2400, v24
	ds_write2_b64 v0, v[18:19], v[2:3] offset0:96 offset1:174
	v_mov_b32_e32 v9, v1
	v_mov_b32_e32 v21, v7
	v_add_u32_e32 v0, 0x2800, v24
	v_mov_b32_e32 v17, v5
	ds_write2_b64 v0, v[8:9], v[20:21] offset0:124 offset1:202
	ds_write_b64 v24, v[16:17] offset:12480
.LBB0_31:
	s_or_b64 exec, exec, s[22:23]
	v_add_u32_e32 v1, 0xa00, v74
	s_waitcnt lgkmcnt(0)
	s_barrier
	ds_read2_b64 v[2:5], v1 offset0:44 offset1:226
	ds_read2_b64 v[6:9], v74 offset1:182
	v_add_u32_e32 v0, 0x2000, v74
	ds_read2_b64 v[10:13], v0 offset0:68 offset1:250
	v_add_u32_e32 v30, 0x1600, v74
	s_waitcnt lgkmcnt(2)
	v_pk_mul_f32 v[14:15], v[44:45], v[4:5]
	s_mov_b32 s0, 0x3f5db3d7
	v_pk_fma_f32 v[18:19], v[64:65], v[4:5], v[14:15] op_sel:[0,0,1] op_sel_hi:[1,1,0]
	v_pk_fma_f32 v[4:5], v[64:65], v[4:5], v[14:15] op_sel:[0,0,1] op_sel_hi:[1,1,0] neg_lo:[0,0,1] neg_hi:[0,0,1]
	ds_read2_b64 v[14:17], v30 offset0:24 offset1:206
	v_mov_b32_e32 v19, v5
	s_waitcnt lgkmcnt(1)
	v_pk_mul_f32 v[4:5], v[46:47], v[10:11]
	s_movk_i32 s2, 0x2000
	v_pk_fma_f32 v[20:21], v[56:57], v[10:11], v[4:5] op_sel:[0,0,1] op_sel_hi:[1,1,0]
	v_pk_fma_f32 v[4:5], v[56:57], v[10:11], v[4:5] op_sel:[0,0,1] op_sel_hi:[1,1,0] neg_lo:[0,0,1] neg_hi:[0,0,1]
	s_waitcnt lgkmcnt(0)
	v_pk_mul_f32 v[10:11], v[40:41], v[14:15]
	v_pk_mul_f32 v[26:27], v[36:37], v[16:17]
	v_pk_fma_f32 v[24:25], v[62:63], v[14:15], v[10:11] op_sel:[0,0,1] op_sel_hi:[1,1,0]
	v_pk_fma_f32 v[10:11], v[62:63], v[14:15], v[10:11] op_sel:[0,0,1] op_sel_hi:[1,1,0] neg_lo:[0,0,1] neg_hi:[0,0,1]
	v_pk_fma_f32 v[28:29], v[50:51], v[16:17], v[26:27] op_sel:[0,0,1] op_sel_hi:[1,1,0]
	v_mov_b32_e32 v25, v11
	v_pk_mul_f32 v[10:11], v[42:43], v[12:13]
	v_pk_fma_f32 v[16:17], v[50:51], v[16:17], v[26:27] op_sel:[0,0,1] op_sel_hi:[1,1,0] neg_lo:[0,0,1] neg_hi:[0,0,1]
	v_pk_fma_f32 v[14:15], v[58:59], v[12:13], v[10:11] op_sel:[0,0,1] op_sel_hi:[1,1,0]
	v_pk_fma_f32 v[10:11], v[58:59], v[12:13], v[10:11] op_sel:[0,0,1] op_sel_hi:[1,1,0] neg_lo:[0,0,1] neg_hi:[0,0,1]
	ds_read_b64 v[12:13], v74 offset:11648
	v_mov_b32_e32 v21, v5
	v_mov_b32_e32 v29, v17
	v_pk_add_f32 v[4:5], v[6:7], v[18:19]
	v_mov_b32_e32 v15, v11
	s_waitcnt lgkmcnt(0)
	v_pk_mul_f32 v[16:17], v[38:39], v[12:13]
	v_pk_add_f32 v[10:11], v[8:9], v[24:25]
	v_pk_fma_f32 v[26:27], v[22:23], v[12:13], v[16:17] op_sel:[0,0,1] op_sel_hi:[1,1,0]
	v_pk_fma_f32 v[12:13], v[22:23], v[12:13], v[16:17] op_sel:[0,0,1] op_sel_hi:[1,1,0] neg_lo:[0,0,1] neg_hi:[0,0,1]
	v_pk_add_f32 v[16:17], v[18:19], v[20:21]
	v_pk_add_f32 v[4:5], v[4:5], v[20:21]
	v_pk_fma_f32 v[6:7], v[16:17], 0.5, v[6:7] op_sel_hi:[1,0,1] neg_lo:[1,0,0] neg_hi:[1,0,0]
	v_pk_add_f32 v[16:17], v[18:19], v[20:21] neg_lo:[0,1] neg_hi:[0,1]
	v_pk_add_f32 v[10:11], v[10:11], v[14:15]
	v_pk_mul_f32 v[16:17], v[16:17], s[0:1] op_sel_hi:[1,0]
	ds_write2_b64 v74, v[4:5], v[10:11] offset1:182
	v_pk_add_f32 v[18:19], v[6:7], v[16:17] op_sel:[0,1] op_sel_hi:[1,0] neg_lo:[0,1] neg_hi:[0,1]
	v_pk_add_f32 v[6:7], v[6:7], v[16:17] op_sel:[0,1] op_sel_hi:[1,0]
	v_mov_b32_e32 v17, v19
	v_mov_b32_e32 v16, v6
	;; [unrolled: 1-line block ×3, first 2 shown]
	v_pk_add_f32 v[4:5], v[24:25], v[14:15]
	v_pk_add_f32 v[6:7], v[24:25], v[14:15] neg_lo:[0,1] neg_hi:[0,1]
	v_pk_fma_f32 v[4:5], v[4:5], 0.5, v[8:9] op_sel_hi:[1,0,1] neg_lo:[1,0,0] neg_hi:[1,0,0]
	v_pk_mul_f32 v[6:7], v[6:7], s[0:1] op_sel_hi:[1,0]
	v_mov_b32_e32 v27, v13
	v_pk_add_f32 v[8:9], v[4:5], v[6:7] op_sel:[0,1] op_sel_hi:[1,0] neg_lo:[0,1] neg_hi:[0,1]
	v_pk_add_f32 v[4:5], v[4:5], v[6:7] op_sel:[0,1] op_sel_hi:[1,0]
	v_mov_b32_e32 v7, v9
	v_mov_b32_e32 v6, v4
	;; [unrolled: 1-line block ×3, first 2 shown]
	v_pk_add_f32 v[4:5], v[28:29], v[26:27]
	v_pk_add_f32 v[12:13], v[2:3], v[28:29]
	v_pk_fma_f32 v[2:3], v[4:5], 0.5, v[2:3] op_sel_hi:[1,0,1] neg_lo:[1,0,0] neg_hi:[1,0,0]
	v_pk_add_f32 v[4:5], v[28:29], v[26:27] neg_lo:[0,1] neg_hi:[0,1]
	ds_write2_b64 v0, v[16:17], v[6:7] offset0:68 offset1:250
	v_pk_mul_f32 v[4:5], v[4:5], s[0:1] op_sel_hi:[1,0]
	v_pk_add_f32 v[12:13], v[12:13], v[26:27]
	v_pk_add_f32 v[6:7], v[2:3], v[4:5] op_sel:[0,1] op_sel_hi:[1,0] neg_lo:[0,1] neg_hi:[0,1]
	v_pk_add_f32 v[2:3], v[2:3], v[4:5] op_sel:[0,1] op_sel_hi:[1,0]
	v_mov_b32_e32 v4, v6
	v_mov_b32_e32 v5, v3
	;; [unrolled: 1-line block ×3, first 2 shown]
	ds_write2_b64 v1, v[12:13], v[18:19] offset0:44 offset1:226
	ds_write2_b64 v30, v[8:9], v[4:5] offset0:24 offset1:206
	ds_write_b64 v74, v[2:3] offset:11648
	s_waitcnt lgkmcnt(0)
	s_barrier
	s_and_b64 exec, exec, s[8:9]
	s_cbranch_execz .LBB0_33
; %bb.32:
	global_load_dwordx2 v[10:11], v74, s[16:17]
	global_load_dwordx2 v[12:13], v74, s[16:17] offset:1008
	global_load_dwordx2 v[14:15], v74, s[16:17] offset:2016
	;; [unrolled: 1-line block ×3, first 2 shown]
	ds_read_b64 v[18:19], v74
	global_load_dwordx2 v[26:27], v74, s[16:17] offset:4032
	v_mov_b32_e32 v75, 0
	v_mad_u64_u32 v[22:23], s[0:1], s14, v252, 0
	v_mad_u64_u32 v[24:25], s[4:5], s12, v250, 0
	s_movk_i32 s6, 0x1000
	v_lshl_add_u64 v[30:31], s[16:17], 0, v[74:75]
	v_mov_b32_e32 v28, v23
	v_mov_b32_e32 v32, v25
	v_add_co_u32_e32 v34, vcc, s6, v30
	v_add_u32_e32 v1, 0x800, v74
	v_mad_u64_u32 v[28:29], s[4:5], s15, v252, v[28:29]
	v_mad_u64_u32 v[32:33], s[4:5], s13, v250, v[32:33]
	v_addc_co_u32_e32 v35, vcc, 0, v31, vcc
	ds_read2_b64 v[2:5], v74 offset0:126 offset1:252
	ds_read2_b64 v[6:9], v1 offset0:122 offset1:248
	v_mov_b32_e32 v23, v28
	v_mov_b32_e32 v25, v32
	global_load_dwordx2 v[28:29], v[34:35], off offset:944
	global_load_dwordx2 v[32:33], v[34:35], off offset:1952
	;; [unrolled: 1-line block ×4, first 2 shown]
	v_mov_b32_e32 v20, s18
	v_mov_b32_e32 v21, s19
	v_lshl_add_u64 v[20:21], v[22:23], 3, v[20:21]
	s_mov_b32 s0, 0x14014014
	v_mov_b32_e32 v40, 0x3f0
	v_lshl_add_u64 v[20:21], v[24:25], 3, v[20:21]
	s_mov_b32 s1, 0x3f440140
	s_mul_i32 s3, s13, 0x3f0
	v_mad_u64_u32 v[22:23], s[4:5], s12, v40, v[20:21]
	v_add_u32_e32 v23, s3, v23
	v_mad_u64_u32 v[24:25], s[4:5], s12, v40, v[22:23]
	v_add_u32_e32 v25, s3, v25
	s_waitcnt vmcnt(8) lgkmcnt(2)
	v_mul_f32_e32 v1, v19, v11
	v_mul_f32_e32 v11, v18, v11
	s_waitcnt vmcnt(7) lgkmcnt(1)
	v_mul_f32_e32 v34, v3, v13
	s_waitcnt vmcnt(6)
	v_mul_f32_e32 v35, v5, v15
	v_mul_f32_e32 v13, v2, v13
	;; [unrolled: 1-line block ×3, first 2 shown]
	s_waitcnt vmcnt(5) lgkmcnt(0)
	v_mul_f32_e32 v41, v7, v17
	v_mul_f32_e32 v17, v6, v17
	v_fmac_f32_e32 v1, v18, v10
	v_fma_f32 v10, v10, v19, -v11
	v_fmac_f32_e32 v34, v2, v12
	v_fmac_f32_e32 v35, v4, v14
	v_fma_f32 v11, v12, v3, -v13
	v_fma_f32 v14, v14, v5, -v15
	v_fmac_f32_e32 v41, v6, v16
	v_fma_f32 v18, v16, v7, -v17
	v_cvt_f64_f32_e32 v[2:3], v1
	v_cvt_f64_f32_e32 v[4:5], v10
	;; [unrolled: 1-line block ×6, first 2 shown]
	v_mul_f64 v[2:3], v[2:3], s[0:1]
	v_mul_f64 v[4:5], v[4:5], s[0:1]
	;; [unrolled: 1-line block ×6, first 2 shown]
	v_cvt_f32_f64_e32 v2, v[2:3]
	v_cvt_f32_f64_e32 v3, v[4:5]
	;; [unrolled: 1-line block ×4, first 2 shown]
	v_add_co_u32_e32 v12, vcc, s2, v30
	v_cvt_f32_f64_e32 v5, v[10:11]
	v_cvt_f32_f64_e32 v7, v[14:15]
	global_store_dwordx2 v[20:21], v[2:3], off
	global_store_dwordx2 v[22:23], v[4:5], off
	;; [unrolled: 1-line block ×3, first 2 shown]
	v_addc_co_u32_e32 v13, vcc, 0, v31, vcc
	global_load_dwordx2 v[14:15], v[12:13], off offset:880
	v_cvt_f64_f32_e32 v[2:3], v18
	s_waitcnt vmcnt(8)
	v_mul_f32_e32 v1, v9, v27
	v_mul_f64 v[2:3], v[2:3], s[0:1]
	v_fmac_f32_e32 v1, v8, v26
	v_cvt_f32_f64_e32 v11, v[2:3]
	v_cvt_f64_f32_e32 v[2:3], v1
	v_mul_f32_e32 v1, v8, v27
	v_fma_f32 v1, v26, v9, -v1
	global_load_dwordx2 v[8:9], v[12:13], off offset:1888
	v_cvt_f64_f32_e32 v[16:17], v41
	v_mul_f64 v[16:17], v[16:17], s[0:1]
	v_cvt_f32_f64_e32 v10, v[16:17]
	global_load_dwordx2 v[16:17], v[12:13], off offset:2896
	v_mad_u64_u32 v[6:7], s[4:5], s12, v40, v[24:25]
	v_add_u32_e32 v7, s3, v7
	v_mul_f64 v[2:3], v[2:3], s[0:1]
	global_store_dwordx2 v[6:7], v[10:11], off
	v_cvt_f32_f64_e32 v10, v[2:3]
	v_cvt_f64_f32_e32 v[2:3], v1
	v_mul_f64 v[2:3], v[2:3], s[0:1]
	v_add_u32_e32 v1, 0x1000, v74
	v_cvt_f32_f64_e32 v11, v[2:3]
	ds_read2_b64 v[2:5], v1 offset0:118 offset1:244
	v_mad_u64_u32 v[6:7], s[4:5], s12, v40, v[6:7]
	v_add_u32_e32 v7, s3, v7
	global_store_dwordx2 v[6:7], v[10:11], off
	s_waitcnt vmcnt(11) lgkmcnt(0)
	v_mul_f32_e32 v1, v3, v29
	v_fmac_f32_e32 v1, v2, v28
	v_cvt_f64_f32_e32 v[10:11], v1
	v_mul_f32_e32 v1, v2, v29
	v_fma_f32 v1, v28, v3, -v1
	v_cvt_f64_f32_e32 v[2:3], v1
	s_waitcnt vmcnt(10)
	v_mul_f32_e32 v1, v5, v33
	v_mul_f64 v[10:11], v[10:11], s[0:1]
	v_mul_f64 v[2:3], v[2:3], s[0:1]
	v_fmac_f32_e32 v1, v4, v32
	v_cvt_f32_f64_e32 v10, v[10:11]
	v_cvt_f32_f64_e32 v11, v[2:3]
	v_mad_u64_u32 v[6:7], s[4:5], s12, v40, v[6:7]
	v_cvt_f64_f32_e32 v[2:3], v1
	v_mul_f32_e32 v1, v4, v33
	v_add_u32_e32 v7, s3, v7
	v_mul_f64 v[2:3], v[2:3], s[0:1]
	v_fma_f32 v1, v32, v5, -v1
	global_store_dwordx2 v[6:7], v[10:11], off
	v_cvt_f32_f64_e32 v10, v[2:3]
	v_cvt_f64_f32_e32 v[2:3], v1
	v_mul_f64 v[2:3], v[2:3], s[0:1]
	v_add_u32_e32 v1, 0x1800, v74
	v_cvt_f32_f64_e32 v11, v[2:3]
	ds_read2_b64 v[2:5], v1 offset0:114 offset1:240
	v_mad_u64_u32 v[6:7], s[4:5], s12, v40, v[6:7]
	v_add_u32_e32 v7, s3, v7
	global_store_dwordx2 v[6:7], v[10:11], off
	s_waitcnt vmcnt(11) lgkmcnt(0)
	v_mul_f32_e32 v1, v3, v37
	v_fmac_f32_e32 v1, v2, v36
	v_cvt_f64_f32_e32 v[10:11], v1
	v_mul_f32_e32 v1, v2, v37
	v_fma_f32 v1, v36, v3, -v1
	v_cvt_f64_f32_e32 v[2:3], v1
	s_waitcnt vmcnt(10)
	v_mul_f32_e32 v1, v5, v39
	v_mul_f64 v[10:11], v[10:11], s[0:1]
	v_mul_f64 v[2:3], v[2:3], s[0:1]
	v_fmac_f32_e32 v1, v4, v38
	v_cvt_f32_f64_e32 v10, v[10:11]
	v_cvt_f32_f64_e32 v11, v[2:3]
	v_mad_u64_u32 v[6:7], s[4:5], s12, v40, v[6:7]
	v_cvt_f64_f32_e32 v[2:3], v1
	v_mul_f32_e32 v1, v4, v39
	v_add_u32_e32 v7, s3, v7
	v_mul_f64 v[2:3], v[2:3], s[0:1]
	v_fma_f32 v1, v38, v5, -v1
	global_store_dwordx2 v[6:7], v[10:11], off
	v_cvt_f32_f64_e32 v10, v[2:3]
	v_cvt_f64_f32_e32 v[2:3], v1
	v_mul_f64 v[2:3], v[2:3], s[0:1]
	v_cvt_f32_f64_e32 v11, v[2:3]
	ds_read2_b64 v[0:3], v0 offset0:110 offset1:236
	v_mad_u64_u32 v[4:5], s[4:5], s12, v40, v[6:7]
	v_add_u32_e32 v5, s3, v5
	global_store_dwordx2 v[4:5], v[10:11], off
	s_waitcnt vmcnt(8) lgkmcnt(0)
	v_mul_f32_e32 v6, v1, v15
	v_fmac_f32_e32 v6, v0, v14
	v_mul_f32_e32 v0, v0, v15
	v_fma_f32 v0, v14, v1, -v0
	v_cvt_f64_f32_e32 v[6:7], v6
	v_cvt_f64_f32_e32 v[0:1], v0
	v_mul_f64 v[6:7], v[6:7], s[0:1]
	v_mul_f64 v[0:1], v[0:1], s[0:1]
	v_cvt_f32_f64_e32 v6, v[6:7]
	v_cvt_f32_f64_e32 v7, v[0:1]
	s_waitcnt vmcnt(7)
	v_mul_f32_e32 v0, v3, v9
	v_fmac_f32_e32 v0, v2, v8
	v_mad_u64_u32 v[4:5], s[4:5], s12, v40, v[4:5]
	v_cvt_f64_f32_e32 v[0:1], v0
	v_add_u32_e32 v5, s3, v5
	v_mul_f64 v[0:1], v[0:1], s[0:1]
	global_store_dwordx2 v[4:5], v[6:7], off
	v_cvt_f32_f64_e32 v6, v[0:1]
	v_mul_f32_e32 v0, v2, v9
	v_fma_f32 v0, v8, v3, -v0
	v_cvt_f64_f32_e32 v[0:1], v0
	v_mul_f64 v[0:1], v[0:1], s[0:1]
	v_cvt_f32_f64_e32 v7, v[0:1]
	v_add_u32_e32 v0, 0x2800, v74
	ds_read2_b64 v[0:3], v0 offset0:106 offset1:232
	v_mad_u64_u32 v[4:5], s[4:5], s12, v40, v[4:5]
	v_add_u32_e32 v5, s3, v5
	global_store_dwordx2 v[4:5], v[6:7], off
	s_waitcnt vmcnt(8) lgkmcnt(0)
	v_mul_f32_e32 v6, v1, v17
	v_fmac_f32_e32 v6, v0, v16
	v_mul_f32_e32 v0, v0, v17
	v_fma_f32 v0, v16, v1, -v0
	v_cvt_f64_f32_e32 v[6:7], v6
	v_cvt_f64_f32_e32 v[0:1], v0
	v_mul_f64 v[6:7], v[6:7], s[0:1]
	v_mul_f64 v[0:1], v[0:1], s[0:1]
	v_cvt_f32_f64_e32 v6, v[6:7]
	v_cvt_f32_f64_e32 v7, v[0:1]
	v_mad_u64_u32 v[0:1], s[4:5], s12, v40, v[4:5]
	v_add_u32_e32 v1, s3, v1
	global_store_dwordx2 v[0:1], v[6:7], off
	global_load_dwordx2 v[4:5], v[12:13], off offset:3904
	s_waitcnt vmcnt(0)
	v_mul_f32_e32 v6, v3, v5
	v_fmac_f32_e32 v6, v2, v4
	v_mul_f32_e32 v2, v2, v5
	v_fma_f32 v2, v4, v3, -v2
	v_cvt_f64_f32_e32 v[6:7], v6
	v_cvt_f64_f32_e32 v[2:3], v2
	v_mul_f64 v[6:7], v[6:7], s[0:1]
	v_mul_f64 v[2:3], v[2:3], s[0:1]
	v_mad_u64_u32 v[0:1], s[0:1], s12, v40, v[0:1]
	v_cvt_f32_f64_e32 v6, v[6:7]
	v_cvt_f32_f64_e32 v7, v[2:3]
	v_add_u32_e32 v1, s3, v1
	global_store_dwordx2 v[0:1], v[6:7], off
.LBB0_33:
	s_endpgm
	.section	.rodata,"a",@progbits
	.p2align	6, 0x0
	.amdhsa_kernel bluestein_single_back_len1638_dim1_sp_op_CI_CI
		.amdhsa_group_segment_fixed_size 13104
		.amdhsa_private_segment_fixed_size 0
		.amdhsa_kernarg_size 104
		.amdhsa_user_sgpr_count 2
		.amdhsa_user_sgpr_dispatch_ptr 0
		.amdhsa_user_sgpr_queue_ptr 0
		.amdhsa_user_sgpr_kernarg_segment_ptr 1
		.amdhsa_user_sgpr_dispatch_id 0
		.amdhsa_user_sgpr_kernarg_preload_length 0
		.amdhsa_user_sgpr_kernarg_preload_offset 0
		.amdhsa_user_sgpr_private_segment_size 0
		.amdhsa_uses_dynamic_stack 0
		.amdhsa_enable_private_segment 0
		.amdhsa_system_sgpr_workgroup_id_x 1
		.amdhsa_system_sgpr_workgroup_id_y 0
		.amdhsa_system_sgpr_workgroup_id_z 0
		.amdhsa_system_sgpr_workgroup_info 0
		.amdhsa_system_vgpr_workitem_id 0
		.amdhsa_next_free_vgpr 316
		.amdhsa_next_free_sgpr 58
		.amdhsa_accum_offset 256
		.amdhsa_reserve_vcc 1
		.amdhsa_float_round_mode_32 0
		.amdhsa_float_round_mode_16_64 0
		.amdhsa_float_denorm_mode_32 3
		.amdhsa_float_denorm_mode_16_64 3
		.amdhsa_dx10_clamp 1
		.amdhsa_ieee_mode 1
		.amdhsa_fp16_overflow 0
		.amdhsa_tg_split 0
		.amdhsa_exception_fp_ieee_invalid_op 0
		.amdhsa_exception_fp_denorm_src 0
		.amdhsa_exception_fp_ieee_div_zero 0
		.amdhsa_exception_fp_ieee_overflow 0
		.amdhsa_exception_fp_ieee_underflow 0
		.amdhsa_exception_fp_ieee_inexact 0
		.amdhsa_exception_int_div_zero 0
	.end_amdhsa_kernel
	.text
.Lfunc_end0:
	.size	bluestein_single_back_len1638_dim1_sp_op_CI_CI, .Lfunc_end0-bluestein_single_back_len1638_dim1_sp_op_CI_CI
                                        ; -- End function
	.section	.AMDGPU.csdata,"",@progbits
; Kernel info:
; codeLenInByte = 16960
; NumSgprs: 64
; NumVgprs: 256
; NumAgprs: 60
; TotalNumVgprs: 316
; ScratchSize: 0
; MemoryBound: 0
; FloatMode: 240
; IeeeMode: 1
; LDSByteSize: 13104 bytes/workgroup (compile time only)
; SGPRBlocks: 7
; VGPRBlocks: 39
; NumSGPRsForWavesPerEU: 64
; NumVGPRsForWavesPerEU: 316
; AccumOffset: 256
; Occupancy: 1
; WaveLimiterHint : 1
; COMPUTE_PGM_RSRC2:SCRATCH_EN: 0
; COMPUTE_PGM_RSRC2:USER_SGPR: 2
; COMPUTE_PGM_RSRC2:TRAP_HANDLER: 0
; COMPUTE_PGM_RSRC2:TGID_X_EN: 1
; COMPUTE_PGM_RSRC2:TGID_Y_EN: 0
; COMPUTE_PGM_RSRC2:TGID_Z_EN: 0
; COMPUTE_PGM_RSRC2:TIDIG_COMP_CNT: 0
; COMPUTE_PGM_RSRC3_GFX90A:ACCUM_OFFSET: 63
; COMPUTE_PGM_RSRC3_GFX90A:TG_SPLIT: 0
	.text
	.p2alignl 6, 3212836864
	.fill 256, 4, 3212836864
	.type	__hip_cuid_3c04861c9dd2c4b0,@object ; @__hip_cuid_3c04861c9dd2c4b0
	.section	.bss,"aw",@nobits
	.globl	__hip_cuid_3c04861c9dd2c4b0
__hip_cuid_3c04861c9dd2c4b0:
	.byte	0                               ; 0x0
	.size	__hip_cuid_3c04861c9dd2c4b0, 1

	.ident	"AMD clang version 19.0.0git (https://github.com/RadeonOpenCompute/llvm-project roc-6.4.0 25133 c7fe45cf4b819c5991fe208aaa96edf142730f1d)"
	.section	".note.GNU-stack","",@progbits
	.addrsig
	.addrsig_sym __hip_cuid_3c04861c9dd2c4b0
	.amdgpu_metadata
---
amdhsa.kernels:
  - .agpr_count:     60
    .args:
      - .actual_access:  read_only
        .address_space:  global
        .offset:         0
        .size:           8
        .value_kind:     global_buffer
      - .actual_access:  read_only
        .address_space:  global
        .offset:         8
        .size:           8
        .value_kind:     global_buffer
      - .actual_access:  read_only
        .address_space:  global
        .offset:         16
        .size:           8
        .value_kind:     global_buffer
      - .actual_access:  read_only
        .address_space:  global
        .offset:         24
        .size:           8
        .value_kind:     global_buffer
      - .actual_access:  read_only
        .address_space:  global
        .offset:         32
        .size:           8
        .value_kind:     global_buffer
      - .offset:         40
        .size:           8
        .value_kind:     by_value
      - .address_space:  global
        .offset:         48
        .size:           8
        .value_kind:     global_buffer
      - .address_space:  global
        .offset:         56
        .size:           8
        .value_kind:     global_buffer
      - .address_space:  global
        .offset:         64
        .size:           8
        .value_kind:     global_buffer
      - .address_space:  global
        .offset:         72
        .size:           8
        .value_kind:     global_buffer
      - .offset:         80
        .size:           4
        .value_kind:     by_value
      - .address_space:  global
        .offset:         88
        .size:           8
        .value_kind:     global_buffer
      - .address_space:  global
        .offset:         96
        .size:           8
        .value_kind:     global_buffer
    .group_segment_fixed_size: 13104
    .kernarg_segment_align: 8
    .kernarg_segment_size: 104
    .language:       OpenCL C
    .language_version:
      - 2
      - 0
    .max_flat_workgroup_size: 182
    .name:           bluestein_single_back_len1638_dim1_sp_op_CI_CI
    .private_segment_fixed_size: 0
    .sgpr_count:     64
    .sgpr_spill_count: 0
    .symbol:         bluestein_single_back_len1638_dim1_sp_op_CI_CI.kd
    .uniform_work_group_size: 1
    .uses_dynamic_stack: false
    .vgpr_count:     316
    .vgpr_spill_count: 0
    .wavefront_size: 64
amdhsa.target:   amdgcn-amd-amdhsa--gfx950
amdhsa.version:
  - 1
  - 2
...

	.end_amdgpu_metadata
